;; amdgpu-corpus repo=ROCm/rocFFT kind=compiled arch=gfx950 opt=O3
	.text
	.amdgcn_target "amdgcn-amd-amdhsa--gfx950"
	.amdhsa_code_object_version 6
	.protected	fft_rtc_fwd_len1925_factors_7_11_5_5_wgs_55_tpt_55_halfLds_dp_op_CI_CI_unitstride_sbrr_dirReg ; -- Begin function fft_rtc_fwd_len1925_factors_7_11_5_5_wgs_55_tpt_55_halfLds_dp_op_CI_CI_unitstride_sbrr_dirReg
	.globl	fft_rtc_fwd_len1925_factors_7_11_5_5_wgs_55_tpt_55_halfLds_dp_op_CI_CI_unitstride_sbrr_dirReg
	.p2align	8
	.type	fft_rtc_fwd_len1925_factors_7_11_5_5_wgs_55_tpt_55_halfLds_dp_op_CI_CI_unitstride_sbrr_dirReg,@function
fft_rtc_fwd_len1925_factors_7_11_5_5_wgs_55_tpt_55_halfLds_dp_op_CI_CI_unitstride_sbrr_dirReg: ; @fft_rtc_fwd_len1925_factors_7_11_5_5_wgs_55_tpt_55_halfLds_dp_op_CI_CI_unitstride_sbrr_dirReg
; %bb.0:
	s_load_dwordx4 s[4:7], s[0:1], 0x58
	s_load_dwordx4 s[8:11], s[0:1], 0x0
	;; [unrolled: 1-line block ×3, first 2 shown]
	v_mul_u32_u24_e32 v1, 0x4a8, v0
	v_add_u32_sdwa v6, s2, v1 dst_sel:DWORD dst_unused:UNUSED_PAD src0_sel:DWORD src1_sel:WORD_1
	v_mov_b32_e32 v2, 0
	s_waitcnt lgkmcnt(0)
	v_cmp_lt_u64_e64 s[2:3], s[10:11], 2
	v_mov_b32_e32 v7, v2
	s_and_b64 vcc, exec, s[2:3]
	v_mov_b64_e32 v[4:5], 0
	s_cbranch_vccnz .LBB0_8
; %bb.1:
	s_load_dwordx2 s[2:3], s[0:1], 0x10
	s_add_u32 s16, s14, 8
	s_addc_u32 s17, s15, 0
	s_add_u32 s18, s12, 8
	s_addc_u32 s19, s13, 0
	s_waitcnt lgkmcnt(0)
	s_add_u32 s20, s2, 8
	v_mov_b64_e32 v[4:5], 0
	s_addc_u32 s21, s3, 0
	s_mov_b64 s[22:23], 1
	v_mov_b64_e32 v[224:225], v[4:5]
.LBB0_2:                                ; =>This Inner Loop Header: Depth=1
	s_load_dwordx2 s[24:25], s[20:21], 0x0
                                        ; implicit-def: $vgpr226_vgpr227
	s_waitcnt lgkmcnt(0)
	v_or_b32_e32 v3, s25, v7
	v_cmp_ne_u64_e32 vcc, 0, v[2:3]
	s_and_saveexec_b64 s[2:3], vcc
	s_xor_b64 s[26:27], exec, s[2:3]
	s_cbranch_execz .LBB0_4
; %bb.3:                                ;   in Loop: Header=BB0_2 Depth=1
	v_cvt_f32_u32_e32 v1, s24
	v_cvt_f32_u32_e32 v3, s25
	s_sub_u32 s2, 0, s24
	s_subb_u32 s3, 0, s25
	v_fmac_f32_e32 v1, 0x4f800000, v3
	v_rcp_f32_e32 v1, v1
	s_nop 0
	v_mul_f32_e32 v1, 0x5f7ffffc, v1
	v_mul_f32_e32 v3, 0x2f800000, v1
	v_trunc_f32_e32 v3, v3
	v_fmac_f32_e32 v1, 0xcf800000, v3
	v_cvt_u32_f32_e32 v3, v3
	v_cvt_u32_f32_e32 v1, v1
	v_mul_lo_u32 v8, s2, v3
	v_mul_hi_u32 v10, s2, v1
	v_mul_lo_u32 v9, s3, v1
	v_add_u32_e32 v10, v10, v8
	v_mul_lo_u32 v12, s2, v1
	v_add_u32_e32 v13, v10, v9
	v_mul_hi_u32 v8, v1, v12
	v_mul_hi_u32 v11, v1, v13
	v_mul_lo_u32 v10, v1, v13
	v_mov_b32_e32 v9, v2
	v_lshl_add_u64 v[8:9], v[8:9], 0, v[10:11]
	v_mul_hi_u32 v11, v3, v12
	v_mul_lo_u32 v12, v3, v12
	v_add_co_u32_e32 v8, vcc, v8, v12
	v_mul_hi_u32 v10, v3, v13
	s_nop 0
	v_addc_co_u32_e32 v8, vcc, v9, v11, vcc
	v_mov_b32_e32 v9, v2
	s_nop 0
	v_addc_co_u32_e32 v11, vcc, 0, v10, vcc
	v_mul_lo_u32 v10, v3, v13
	v_lshl_add_u64 v[8:9], v[8:9], 0, v[10:11]
	v_add_co_u32_e32 v1, vcc, v1, v8
	v_mul_lo_u32 v10, s2, v1
	s_nop 0
	v_addc_co_u32_e32 v3, vcc, v3, v9, vcc
	v_mul_lo_u32 v8, s2, v3
	v_mul_hi_u32 v9, s2, v1
	v_add_u32_e32 v8, v9, v8
	v_mul_lo_u32 v9, s3, v1
	v_add_u32_e32 v12, v8, v9
	v_mul_hi_u32 v14, v3, v10
	v_mul_lo_u32 v15, v3, v10
	v_mul_hi_u32 v9, v1, v12
	v_mul_lo_u32 v8, v1, v12
	v_mul_hi_u32 v10, v1, v10
	v_mov_b32_e32 v11, v2
	v_lshl_add_u64 v[8:9], v[10:11], 0, v[8:9]
	v_add_co_u32_e32 v8, vcc, v8, v15
	v_mul_hi_u32 v13, v3, v12
	s_nop 0
	v_addc_co_u32_e32 v8, vcc, v9, v14, vcc
	v_mul_lo_u32 v10, v3, v12
	s_nop 0
	v_addc_co_u32_e32 v11, vcc, 0, v13, vcc
	v_mov_b32_e32 v9, v2
	v_lshl_add_u64 v[8:9], v[8:9], 0, v[10:11]
	v_add_co_u32_e32 v1, vcc, v1, v8
	v_mul_hi_u32 v10, v6, v1
	s_nop 0
	v_addc_co_u32_e32 v3, vcc, v3, v9, vcc
	v_mad_u64_u32 v[8:9], s[2:3], v6, v3, 0
	v_mov_b32_e32 v11, v2
	v_lshl_add_u64 v[8:9], v[10:11], 0, v[8:9]
	v_mad_u64_u32 v[12:13], s[2:3], v7, v1, 0
	v_add_co_u32_e32 v1, vcc, v8, v12
	v_mad_u64_u32 v[10:11], s[2:3], v7, v3, 0
	s_nop 0
	v_addc_co_u32_e32 v8, vcc, v9, v13, vcc
	v_mov_b32_e32 v9, v2
	s_nop 0
	v_addc_co_u32_e32 v11, vcc, 0, v11, vcc
	v_lshl_add_u64 v[8:9], v[8:9], 0, v[10:11]
	v_mul_lo_u32 v1, s25, v8
	v_mul_lo_u32 v3, s24, v9
	v_mad_u64_u32 v[10:11], s[2:3], s24, v8, 0
	v_add3_u32 v1, v11, v3, v1
	v_sub_u32_e32 v3, v7, v1
	v_mov_b32_e32 v11, s25
	v_sub_co_u32_e32 v14, vcc, v6, v10
	v_lshl_add_u64 v[12:13], v[8:9], 0, 1
	s_nop 0
	v_subb_co_u32_e64 v3, s[2:3], v3, v11, vcc
	v_subrev_co_u32_e64 v10, s[2:3], s24, v14
	v_subb_co_u32_e32 v1, vcc, v7, v1, vcc
	s_nop 0
	v_subbrev_co_u32_e64 v3, s[2:3], 0, v3, s[2:3]
	v_cmp_le_u32_e64 s[2:3], s25, v3
	v_cmp_le_u32_e32 vcc, s25, v1
	s_nop 0
	v_cndmask_b32_e64 v11, 0, -1, s[2:3]
	v_cmp_le_u32_e64 s[2:3], s24, v10
	s_nop 1
	v_cndmask_b32_e64 v10, 0, -1, s[2:3]
	v_cmp_eq_u32_e64 s[2:3], s25, v3
	s_nop 1
	v_cndmask_b32_e64 v3, v11, v10, s[2:3]
	v_lshl_add_u64 v[10:11], v[8:9], 0, 2
	v_cmp_ne_u32_e64 s[2:3], 0, v3
	s_nop 1
	v_cndmask_b32_e64 v3, v13, v11, s[2:3]
	v_cndmask_b32_e64 v11, 0, -1, vcc
	v_cmp_le_u32_e32 vcc, s24, v14
	s_nop 1
	v_cndmask_b32_e64 v13, 0, -1, vcc
	v_cmp_eq_u32_e32 vcc, s25, v1
	s_nop 1
	v_cndmask_b32_e32 v1, v11, v13, vcc
	v_cmp_ne_u32_e32 vcc, 0, v1
	v_cndmask_b32_e64 v1, v12, v10, s[2:3]
	s_nop 0
	v_cndmask_b32_e32 v227, v9, v3, vcc
	v_cndmask_b32_e32 v226, v8, v1, vcc
.LBB0_4:                                ;   in Loop: Header=BB0_2 Depth=1
	s_andn2_saveexec_b64 s[2:3], s[26:27]
	s_cbranch_execz .LBB0_6
; %bb.5:                                ;   in Loop: Header=BB0_2 Depth=1
	v_cvt_f32_u32_e32 v1, s24
	s_sub_i32 s26, 0, s24
	v_mov_b32_e32 v227, v2
	v_rcp_iflag_f32_e32 v1, v1
	s_nop 0
	v_mul_f32_e32 v1, 0x4f7ffffe, v1
	v_cvt_u32_f32_e32 v1, v1
	v_mul_lo_u32 v3, s26, v1
	v_mul_hi_u32 v3, v1, v3
	v_add_u32_e32 v1, v1, v3
	v_mul_hi_u32 v1, v6, v1
	v_mul_lo_u32 v3, v1, s24
	v_sub_u32_e32 v3, v6, v3
	v_add_u32_e32 v8, 1, v1
	v_subrev_u32_e32 v9, s24, v3
	v_cmp_le_u32_e32 vcc, s24, v3
	s_nop 1
	v_cndmask_b32_e32 v3, v3, v9, vcc
	v_cndmask_b32_e32 v1, v1, v8, vcc
	v_add_u32_e32 v8, 1, v1
	v_cmp_le_u32_e32 vcc, s24, v3
	s_nop 1
	v_cndmask_b32_e32 v226, v1, v8, vcc
.LBB0_6:                                ;   in Loop: Header=BB0_2 Depth=1
	s_or_b64 exec, exec, s[2:3]
	v_mad_u64_u32 v[8:9], s[2:3], v226, s24, 0
	s_load_dwordx2 s[2:3], s[18:19], 0x0
	v_mul_lo_u32 v1, v227, s24
	v_mul_lo_u32 v3, v226, s25
	s_load_dwordx2 s[24:25], s[16:17], 0x0
	s_add_u32 s22, s22, 1
	v_add3_u32 v1, v9, v3, v1
	v_sub_co_u32_e32 v3, vcc, v6, v8
	s_addc_u32 s23, s23, 0
	s_nop 0
	v_subb_co_u32_e32 v1, vcc, v7, v1, vcc
	s_add_u32 s16, s16, 8
	s_waitcnt lgkmcnt(0)
	v_mul_lo_u32 v6, s2, v1
	v_mul_lo_u32 v7, s3, v3
	v_mad_u64_u32 v[4:5], s[2:3], s2, v3, v[4:5]
	s_addc_u32 s17, s17, 0
	v_add3_u32 v5, v7, v5, v6
	v_mul_lo_u32 v1, s24, v1
	v_mul_lo_u32 v6, s25, v3
	v_mad_u64_u32 v[224:225], s[2:3], s24, v3, v[224:225]
	s_add_u32 s18, s18, 8
	v_add3_u32 v225, v6, v225, v1
	s_addc_u32 s19, s19, 0
	v_mov_b64_e32 v[6:7], s[10:11]
	s_add_u32 s20, s20, 8
	v_cmp_ge_u64_e32 vcc, s[22:23], v[6:7]
	s_addc_u32 s21, s21, 0
	s_cbranch_vccnz .LBB0_9
; %bb.7:                                ;   in Loop: Header=BB0_2 Depth=1
	v_mov_b64_e32 v[6:7], v[226:227]
	s_branch .LBB0_2
.LBB0_8:
	v_mov_b64_e32 v[224:225], v[4:5]
	v_mov_b64_e32 v[226:227], v[6:7]
.LBB0_9:
	s_load_dwordx2 s[0:1], s[0:1], 0x28
	s_lshl_b64 s[16:17], s[10:11], 3
	s_add_u32 s2, s14, s16
	s_addc_u32 s3, s15, s17
                                        ; implicit-def: $vgpr235
	s_waitcnt lgkmcnt(0)
	v_cmp_gt_u64_e32 vcc, s[0:1], v[226:227]
	v_cmp_le_u64_e64 s[0:1], s[0:1], v[226:227]
	s_and_saveexec_b64 s[10:11], s[0:1]
	s_xor_b64 s[0:1], exec, s[10:11]
; %bb.10:
	s_mov_b32 s10, 0x4a7904b
	v_mul_hi_u32 v1, v0, s10
	v_mul_u32_u24_e32 v1, 55, v1
	v_sub_u32_e32 v235, v0, v1
                                        ; implicit-def: $vgpr0
                                        ; implicit-def: $vgpr4_vgpr5
; %bb.11:
	s_or_saveexec_b64 s[10:11], s[0:1]
                                        ; implicit-def: $vgpr130_vgpr131
                                        ; implicit-def: $vgpr126_vgpr127
                                        ; implicit-def: $vgpr118_vgpr119
                                        ; implicit-def: $vgpr106_vgpr107
                                        ; implicit-def: $vgpr98_vgpr99
                                        ; implicit-def: $vgpr86_vgpr87
                                        ; implicit-def: $vgpr66_vgpr67
                                        ; implicit-def: $vgpr146_vgpr147
                                        ; implicit-def: $vgpr142_vgpr143
                                        ; implicit-def: $vgpr134_vgpr135
                                        ; implicit-def: $vgpr138_vgpr139
                                        ; implicit-def: $vgpr82_vgpr83
                                        ; implicit-def: $vgpr122_vgpr123
                                        ; implicit-def: $vgpr6_vgpr7
                                        ; implicit-def: $vgpr170_vgpr171
                                        ; implicit-def: $vgpr162_vgpr163
                                        ; implicit-def: $vgpr158_vgpr159
                                        ; implicit-def: $vgpr78_vgpr79
                                        ; implicit-def: $vgpr114_vgpr115
                                        ; implicit-def: $vgpr62_vgpr63
                                        ; implicit-def: $vgpr70_vgpr71
                                        ; implicit-def: $vgpr186_vgpr187
                                        ; implicit-def: $vgpr178_vgpr179
                                        ; implicit-def: $vgpr174_vgpr175
                                        ; implicit-def: $vgpr110_vgpr111
                                        ; implicit-def: $vgpr54_vgpr55
                                        ; implicit-def: $vgpr58_vgpr59
                                        ; implicit-def: $vgpr2_vgpr3
                                        ; implicit-def: $vgpr218_vgpr219
                                        ; implicit-def: $vgpr206_vgpr207
                                        ; implicit-def: $vgpr194_vgpr195
                                        ; implicit-def: $vgpr190_vgpr191
                                        ; implicit-def: $vgpr90_vgpr91
                                        ; implicit-def: $vgpr182_vgpr183
                                        ; implicit-def: $vgpr74_vgpr75
	s_xor_b64 exec, exec, s[10:11]
	s_cbranch_execz .LBB0_13
; %bb.12:
	s_add_u32 s0, s12, s16
	s_addc_u32 s1, s13, s17
	s_load_dwordx2 s[0:1], s[0:1], 0x0
	s_mov_b32 s12, 0x4a7904b
	s_waitcnt lgkmcnt(0)
	v_mul_lo_u32 v1, s1, v226
	v_mul_lo_u32 v6, s0, v227
	v_mad_u64_u32 v[2:3], s[0:1], s0, v226, 0
	v_add3_u32 v3, v3, v6, v1
	v_mul_hi_u32 v1, v0, s12
	v_mul_u32_u24_e32 v1, 55, v1
	v_sub_u32_e32 v235, v0, v1
	v_lshl_add_u64 v[0:1], v[2:3], 4, s[4:5]
	v_lshl_add_u64 v[0:1], v[4:5], 4, v[0:1]
	v_lshlrev_b32_e32 v2, 4, v235
	v_mov_b32_e32 v3, 0
	v_lshl_add_u64 v[8:9], v[0:1], 0, v[2:3]
	s_movk_i32 s0, 0x1000
	v_add_co_u32_e64 v10, s[0:1], s0, v8
	s_nop 1
	v_addc_co_u32_e64 v11, s[0:1], 0, v9, s[0:1]
	s_movk_i32 s0, 0x2000
	s_nop 0
	v_add_co_u32_e64 v20, s[0:1], s0, v8
	s_nop 1
	v_addc_co_u32_e64 v21, s[0:1], 0, v9, s[0:1]
	s_movk_i32 s0, 0x3000
	s_nop 0
	;; [unrolled: 5-line block ×3, first 2 shown]
	v_add_co_u32_e64 v14, s[0:1], s0, v8
	global_load_dwordx4 v[72:75], v[8:9], off
	global_load_dwordx4 v[0:3], v[8:9], off offset:880
	global_load_dwordx4 v[88:91], v[20:21], off offset:608
	;; [unrolled: 1-line block ×11, first 2 shown]
	v_addc_co_u32_e64 v15, s[0:1], 0, v9, s[0:1]
	s_movk_i32 s0, 0x5000
	s_nop 0
	v_add_co_u32_e64 v16, s[0:1], s0, v8
	s_nop 1
	v_addc_co_u32_e64 v17, s[0:1], 0, v9, s[0:1]
	s_movk_i32 s0, 0x6000
	s_nop 0
	v_add_co_u32_e64 v18, s[0:1], s0, v8
	s_nop 1
	;; [unrolled: 5-line block ×3, first 2 shown]
	v_addc_co_u32_e64 v21, s[0:1], 0, v9, s[0:1]
	global_load_dwordx4 v[180:183], v[10:11], off offset:304
	global_load_dwordx4 v[64:67], v[8:9], off offset:3520
	;; [unrolled: 1-line block ×15, first 2 shown]
                                        ; kill: killed $vgpr14 killed $vgpr15
                                        ; kill: killed $vgpr12 killed $vgpr13
                                        ; kill: killed $vgpr8 killed $vgpr9
                                        ; kill: killed $vgpr10 killed $vgpr11
	global_load_dwordx4 v[116:119], v[16:17], off offset:640
	global_load_dwordx4 v[216:219], v[18:19], off offset:1824
                                        ; kill: killed $vgpr16 killed $vgpr17
	global_load_dwordx4 v[184:187], v[18:19], off offset:2704
	global_load_dwordx4 v[140:143], v[18:19], off offset:64
	;; [unrolled: 1-line block ×6, first 2 shown]
.LBB0_13:
	s_or_b64 exec, exec, s[10:11]
	s_waitcnt vmcnt(6)
	v_add_f64 v[8:9], v[216:217], v[180:181]
	v_add_f64 v[12:13], v[204:205], v[88:89]
	v_add_f64 v[14:15], v[90:91], -v[206:207]
	v_add_f64 v[16:17], v[192:193], v[188:189]
	v_add_f64 v[18:19], v[194:195], -v[190:191]
	;; [unrolled: 2-line block ×3, first 2 shown]
	v_add_f64 v[22:23], v[12:13], -v[8:9]
	v_add_f64 v[8:9], v[8:9], -v[16:17]
	;; [unrolled: 1-line block ×3, first 2 shown]
	v_add_f64 v[12:13], v[18:19], v[14:15]
	v_add_f64 v[16:17], v[16:17], v[20:21]
	s_mov_b32 s10, 0x37e14327
	s_mov_b32 s14, 0xe976ee23
	v_add_f64 v[26:27], v[18:19], -v[14:15]
	v_add_f64 v[20:21], v[12:13], v[10:11]
	v_add_f64 v[12:13], v[72:73], v[16:17]
	s_mov_b32 s11, 0x3fe948f6
	s_mov_b32 s4, 0x36b3c0b5
	;; [unrolled: 1-line block ×5, first 2 shown]
	v_add_f64 v[18:19], v[10:11], -v[18:19]
	v_add_f64 v[14:15], v[14:15], -v[10:11]
	v_mul_f64 v[10:11], v[8:9], s[10:11]
	s_mov_b32 s5, 0x3fac98ee
	v_mul_f64 v[8:9], v[26:27], s[14:15]
	s_mov_b32 s13, 0x3febfeb5
	s_mov_b32 s17, 0xbff2aaaa
	v_mov_b64_e32 v[26:27], v[12:13]
	s_mov_b32 s18, 0x5476071b
	s_mov_b32 s22, 0xb247c609
	v_mul_f64 v[28:29], v[24:25], s[4:5]
	v_fmac_f64_e32 v[26:27], s[16:17], v[16:17]
	v_mul_f64 v[16:17], v[14:15], s[12:13]
	s_mov_b32 s19, 0x3fe77f67
	s_mov_b32 s21, 0xbfe77f67
	;; [unrolled: 1-line block ×7, first 2 shown]
	v_fma_f64 v[28:29], v[22:23], s[18:19], -v[28:29]
	v_fma_f64 v[22:23], v[22:23], s[20:21], -v[10:11]
	v_fmac_f64_e32 v[10:11], s[4:5], v[24:25]
	v_fma_f64 v[14:15], v[14:15], s[12:13], -v[8:9]
	v_fmac_f64_e32 v[8:9], s[22:23], v[18:19]
	v_fma_f64 v[16:17], v[18:19], s[26:27], -v[16:17]
	s_mov_b32 s25, 0x3fdc38aa
	v_add_f64 v[10:11], v[10:11], v[26:27]
	v_add_f64 v[24:25], v[28:29], v[26:27]
	;; [unrolled: 1-line block ×3, first 2 shown]
	v_fmac_f64_e32 v[8:9], s[24:25], v[20:21]
	v_fmac_f64_e32 v[14:15], s[24:25], v[20:21]
	;; [unrolled: 1-line block ×3, first 2 shown]
	v_add_f64 v[20:21], v[8:9], v[10:11]
	v_add_f64 v[18:19], v[16:17], v[22:23]
	v_add_f64 v[26:27], v[24:25], -v[14:15]
	v_add_f64 v[16:17], v[22:23], -v[16:17]
	s_waitcnt vmcnt(5)
	v_add_f64 v[22:23], v[184:185], v[56:57]
	v_add_f64 v[28:29], v[176:177], v[52:53]
	v_mad_u32_u24 v72, v235, 56, 0
	ds_write2_b64 v72, v[12:13], v[20:21] offset1:1
	v_add_f64 v[20:21], v[172:173], v[108:109]
	ds_write2_b64 v72, v[18:19], v[26:27] offset0:2 offset1:3
	v_add_f64 v[18:19], v[28:29], v[22:23]
	v_add_f64 v[12:13], v[54:55], -v[178:179]
	v_add_f64 v[26:27], v[28:29], -v[22:23]
	;; [unrolled: 1-line block ×4, first 2 shown]
	v_add_f64 v[18:19], v[20:21], v[18:19]
	v_add_f64 v[20:21], v[174:175], -v[110:111]
	v_add_f64 v[14:15], v[14:15], v[24:25]
	v_add_f64 v[24:25], v[58:59], -v[186:187]
	v_add_f64 v[30:31], v[20:21], v[12:13]
	v_add_f64 v[0:1], v[0:1], v[18:19]
	v_add_f64 v[32:33], v[20:21], -v[12:13]
	v_add_f64 v[20:21], v[24:25], -v[20:21]
	;; [unrolled: 1-line block ×3, first 2 shown]
	v_add_f64 v[24:25], v[30:31], v[24:25]
	v_mov_b64_e32 v[30:31], v[0:1]
	v_fmac_f64_e32 v[30:31], s[16:17], v[18:19]
	v_mul_f64 v[18:19], v[22:23], s[10:11]
	v_mul_f64 v[22:23], v[28:29], s[4:5]
	v_fma_f64 v[22:23], v[26:27], s[18:19], -v[22:23]
	v_fma_f64 v[26:27], v[26:27], s[20:21], -v[18:19]
	v_fmac_f64_e32 v[18:19], s[4:5], v[28:29]
	v_mul_f64 v[28:29], v[32:33], s[14:15]
	v_mul_f64 v[32:33], v[12:13], s[12:13]
	v_fma_f64 v[12:13], v[12:13], s[12:13], -v[28:29]
	v_fmac_f64_e32 v[28:29], s[22:23], v[20:21]
	v_fma_f64 v[20:21], v[20:21], s[26:27], -v[32:33]
	v_add_f64 v[18:19], v[18:19], v[30:31]
	v_fmac_f64_e32 v[28:29], s[24:25], v[24:25]
	v_add_f64 v[22:23], v[22:23], v[30:31]
	v_add_f64 v[26:27], v[26:27], v[30:31]
	v_fmac_f64_e32 v[12:13], s[24:25], v[24:25]
	v_fmac_f64_e32 v[20:21], s[24:25], v[24:25]
	ds_write2_b64 v72, v[14:15], v[16:17] offset0:4 offset1:5
	v_add_f64 v[14:15], v[28:29], v[18:19]
	v_add_u32_e32 v73, 0xc08, v72
	v_add_f64 v[16:17], v[22:23], -v[12:13]
	v_add_f64 v[12:13], v[12:13], v[22:23]
	v_add_f64 v[22:23], v[20:21], v[26:27]
	v_add_f64 v[20:21], v[26:27], -v[20:21]
	ds_write2_b64 v73, v[0:1], v[14:15] offset1:1
	s_waitcnt vmcnt(2)
	v_add_f64 v[0:1], v[168:169], v[60:61]
	v_add_f64 v[14:15], v[160:161], v[112:113]
	v_add_u32_e32 v236, 0xc18, v72
	v_add_u32_e32 v237, 0xc28, v72
	ds_write2_b64 v236, v[22:23], v[16:17] offset1:1
	v_add_f64 v[16:17], v[156:157], v[76:77]
	ds_write2_b64 v237, v[12:13], v[20:21] offset1:1
	v_add_f64 v[12:13], v[14:15], v[0:1]
	v_add_f64 v[22:23], v[114:115], -v[162:163]
	v_add_f64 v[24:25], v[158:159], -v[78:79]
	v_add_f64 v[20:21], v[14:15], -v[0:1]
	v_add_f64 v[0:1], v[0:1], -v[16:17]
	v_add_f64 v[14:15], v[16:17], -v[14:15]
	v_add_f64 v[12:13], v[16:17], v[12:13]
	v_add_f64 v[16:17], v[62:63], -v[170:171]
	v_add_f64 v[26:27], v[24:25], v[22:23]
	v_add_f64 v[30:31], v[24:25], -v[22:23]
	v_add_f64 v[24:25], v[16:17], -v[24:25]
	;; [unrolled: 1-line block ×3, first 2 shown]
	v_add_f64 v[16:17], v[26:27], v[16:17]
	v_add_f64 v[26:27], v[68:69], v[12:13]
	v_mov_b64_e32 v[32:33], v[26:27]
	v_mul_f64 v[0:1], v[0:1], s[10:11]
	v_fmac_f64_e32 v[32:33], s[16:17], v[12:13]
	v_mul_f64 v[12:13], v[30:31], s[14:15]
	v_fma_f64 v[30:31], v[20:21], s[20:21], -v[0:1]
	v_fmac_f64_e32 v[0:1], s[4:5], v[14:15]
	v_mul_f64 v[14:15], v[14:15], s[4:5]
	v_fma_f64 v[14:15], v[20:21], s[18:19], -v[14:15]
	v_mul_f64 v[20:21], v[22:23], s[12:13]
	v_fma_f64 v[34:35], v[22:23], s[12:13], -v[12:13]
	v_fma_f64 v[20:21], v[24:25], s[26:27], -v[20:21]
	v_fmac_f64_e32 v[12:13], s[22:23], v[24:25]
	v_add_f64 v[14:15], v[14:15], v[32:33]
	v_add_f64 v[22:23], v[30:31], v[32:33]
	v_fmac_f64_e32 v[34:35], s[24:25], v[16:17]
	v_fmac_f64_e32 v[20:21], s[24:25], v[16:17]
	;; [unrolled: 1-line block ×3, first 2 shown]
	v_add_u32_e32 v69, 0x1820, v72
	v_add_f64 v[16:17], v[20:21], v[22:23]
	v_add_f64 v[24:25], v[14:15], -v[34:35]
	ds_write2_b64 v69, v[16:17], v[24:25] offset1:1
	v_add_f64 v[14:15], v[34:35], v[14:15]
	v_add_f64 v[16:17], v[22:23], -v[20:21]
	v_add_u32_e32 v238, 0x1830, v72
	v_add_f64 v[0:1], v[0:1], v[32:33]
	ds_write2_b64 v238, v[14:15], v[16:17] offset1:1
	s_waitcnt vmcnt(1)
	v_add_f64 v[14:15], v[144:145], v[120:121]
	v_add_f64 v[16:17], v[140:141], v[80:81]
	v_add_u32_e32 v68, 0x1810, v72
	v_add_f64 v[36:37], v[12:13], v[0:1]
	v_add_f64 v[20:21], v[132:133], v[136:137]
	;; [unrolled: 1-line block ×3, first 2 shown]
	ds_write2_b64 v68, v[26:27], v[36:37] offset1:1
	v_add_f64 v[24:25], v[16:17], -v[14:15]
	v_add_f64 v[14:15], v[14:15], -v[20:21]
	;; [unrolled: 1-line block ×3, first 2 shown]
	v_add_f64 v[20:21], v[20:21], v[22:23]
	v_add_f64 v[26:27], v[82:83], -v[142:143]
	v_add_f64 v[30:31], v[134:135], -v[138:139]
	;; [unrolled: 1-line block ×3, first 2 shown]
	v_add_f64 v[32:33], v[30:31], v[26:27]
	v_add_f64 v[4:5], v[4:5], v[20:21]
	v_add_f64 v[34:35], v[30:31], -v[26:27]
	v_add_f64 v[30:31], v[22:23], -v[30:31]
	;; [unrolled: 1-line block ×3, first 2 shown]
	v_add_f64 v[22:23], v[32:33], v[22:23]
	v_mov_b64_e32 v[32:33], v[4:5]
	v_fmac_f64_e32 v[32:33], s[16:17], v[20:21]
	v_mul_f64 v[14:15], v[14:15], s[10:11]
	v_mul_f64 v[20:21], v[34:35], s[14:15]
	v_fma_f64 v[34:35], v[24:25], s[20:21], -v[14:15]
	v_fmac_f64_e32 v[14:15], s[4:5], v[16:17]
	v_fma_f64 v[36:37], v[26:27], s[12:13], -v[20:21]
	v_fmac_f64_e32 v[20:21], s[22:23], v[30:31]
	v_add_f64 v[14:15], v[14:15], v[32:33]
	v_fmac_f64_e32 v[20:21], s[24:25], v[22:23]
	v_add_u32_e32 v239, 0x2418, v72
	v_add_f64 v[38:39], v[20:21], v[14:15]
	ds_write2_b64 v239, v[4:5], v[38:39] offset1:1
	v_mul_f64 v[4:5], v[16:17], s[4:5]
	v_mul_f64 v[16:17], v[26:27], s[12:13]
	v_fma_f64 v[4:5], v[24:25], s[18:19], -v[4:5]
	v_fma_f64 v[16:17], v[30:31], s[26:27], -v[16:17]
	v_add_f64 v[4:5], v[4:5], v[32:33]
	v_add_f64 v[24:25], v[34:35], v[32:33]
	v_fmac_f64_e32 v[36:37], s[24:25], v[22:23]
	v_fmac_f64_e32 v[16:17], s[24:25], v[22:23]
	v_add_f64 v[22:23], v[16:17], v[24:25]
	v_add_f64 v[26:27], v[4:5], -v[36:37]
	v_add_f64 v[4:5], v[36:37], v[4:5]
	v_add_f64 v[16:17], v[24:25], -v[16:17]
	v_add_u32_e32 v241, 0x2438, v72
	v_add_u32_e32 v240, 0x2428, v72
	ds_write2_b64 v241, v[4:5], v[16:17] offset1:1
	s_waitcnt vmcnt(0)
	v_add_f64 v[4:5], v[128:129], v[84:85]
	v_add_f64 v[16:17], v[124:125], v[96:97]
	ds_write2_b64 v240, v[22:23], v[26:27] offset1:1
	v_add_f64 v[22:23], v[116:117], v[104:105]
	v_add_f64 v[24:25], v[16:17], v[4:5]
	v_add_f64 v[30:31], v[98:99], -v[126:127]
	v_add_f64 v[32:33], v[118:119], -v[106:107]
	;; [unrolled: 1-line block ×5, first 2 shown]
	v_add_f64 v[22:23], v[22:23], v[24:25]
	v_add_f64 v[24:25], v[86:87], -v[130:131]
	v_add_f64 v[34:35], v[32:33], v[30:31]
	v_add_f64 v[36:37], v[32:33], -v[30:31]
	v_add_f64 v[32:33], v[24:25], -v[32:33]
	;; [unrolled: 1-line block ×3, first 2 shown]
	v_add_f64 v[24:25], v[34:35], v[24:25]
	v_add_f64 v[34:35], v[64:65], v[22:23]
	v_mov_b64_e32 v[38:39], v[34:35]
	v_mul_f64 v[4:5], v[4:5], s[10:11]
	v_fmac_f64_e32 v[38:39], s[16:17], v[22:23]
	v_mul_f64 v[22:23], v[36:37], s[14:15]
	v_fma_f64 v[36:37], v[26:27], s[20:21], -v[4:5]
	v_fmac_f64_e32 v[4:5], s[4:5], v[16:17]
	v_mul_f64 v[16:17], v[16:17], s[4:5]
	v_fma_f64 v[16:17], v[26:27], s[18:19], -v[16:17]
	v_mul_f64 v[26:27], v[30:31], s[12:13]
	v_fma_f64 v[40:41], v[30:31], s[12:13], -v[22:23]
	v_fmac_f64_e32 v[22:23], s[22:23], v[32:33]
	v_fma_f64 v[26:27], v[32:33], s[26:27], -v[26:27]
	v_add_f64 v[4:5], v[4:5], v[38:39]
	v_fmac_f64_e32 v[22:23], s[24:25], v[24:25]
	v_add_f64 v[16:17], v[16:17], v[38:39]
	v_add_f64 v[30:31], v[36:37], v[38:39]
	v_fmac_f64_e32 v[40:41], s[24:25], v[24:25]
	v_fmac_f64_e32 v[26:27], s[24:25], v[24:25]
	v_add_u32_e32 v64, 0x3020, v72
	v_add_f64 v[42:43], v[22:23], v[4:5]
	v_add_u32_e32 v65, 0x3030, v72
	v_add_f64 v[24:25], v[26:27], v[30:31]
	v_add_f64 v[32:33], v[16:17], -v[40:41]
	v_add_f64 v[8:9], v[10:11], -v[8:9]
	ds_write2_b64 v64, v[34:35], v[42:43] offset1:1
	ds_write2_b64 v65, v[24:25], v[32:33] offset1:1
	v_add_f64 v[10:11], v[18:19], -v[28:29]
	v_add_f64 v[0:1], v[0:1], -v[12:13]
	;; [unrolled: 1-line block ×3, first 2 shown]
	v_add_f64 v[14:15], v[40:41], v[16:17]
	v_add_f64 v[228:229], v[30:31], -v[26:27]
	ds_write_b64 v72, v[8:9] offset:48
	ds_write_b64 v72, v[10:11] offset:3128
	;; [unrolled: 1-line block ×3, first 2 shown]
	v_add_u32_e32 v242, 0x3040, v72
	v_lshl_add_u32 v230, v235, 3, 0
	s_load_dwordx2 s[2:3], s[2:3], 0x0
	v_add_f64 v[18:19], v[4:5], -v[22:23]
	ds_write_b64 v72, v[12:13] offset:9288
	ds_write2_b64 v242, v[14:15], v[228:229] offset1:1
	ds_write_b64 v72, v[18:19] offset:12368
	s_waitcnt lgkmcnt(0)
	; wave barrier
	s_waitcnt lgkmcnt(0)
	v_add_u32_e32 v244, 0x800, v230
	v_add_u32_e32 v245, 0xc00, v230
	;; [unrolled: 1-line block ×10, first 2 shown]
	ds_read_b64 a[12:13], v230 offset:14880
	ds_read2_b64 v[12:15], v230 offset1:55
	ds_read2_b64 v[8:11], v230 offset0:110 offset1:175
	ds_read2_b64 v[220:223], v244 offset0:94 offset1:149
	;; [unrolled: 1-line block ×13, first 2 shown]
	ds_read2_b64 v[44:47], v247 offset1:55
	ds_read2_b64 v[36:39], v248 offset0:94 offset1:149
	v_cmp_gt_u32_e64 s[0:1], 10, v235
                                        ; implicit-def: $agpr6_agpr7
                                        ; implicit-def: $agpr10_agpr11
                                        ; implicit-def: $agpr16_agpr17
                                        ; implicit-def: $agpr20_agpr21
                                        ; implicit-def: $agpr24_agpr25
	s_and_saveexec_b64 s[28:29], s[0:1]
	s_cbranch_execz .LBB0_15
; %bb.14:
	v_add_u32_e32 v0, 0x1a00, v230
	ds_read2_b64 v[16:19], v249 offset0:37 offset1:212
	ds_read2_b64 a[22:25], v243 offset0:3 offset1:178
	;; [unrolled: 1-line block ×3, first 2 shown]
	v_add_u32_e32 v0, 0x2400, v230
	ds_read2_b64 a[14:17], v0 offset0:63 offset1:238
	ds_read2_b64 a[8:11], v248 offset0:29 offset1:204
	ds_read_b64 a[6:7], v230 offset:15320
	s_waitcnt lgkmcnt(5)
	v_mov_b64_e32 v[228:229], v[16:17]
.LBB0_15:
	s_or_b64 exec, exec, s[28:29]
	v_add_f64 v[0:1], v[218:219], v[182:183]
	v_add_f64 v[16:17], v[206:207], v[90:91]
	v_add_f64 v[20:21], v[88:89], -v[204:205]
	v_add_f64 v[22:23], v[194:195], v[190:191]
	v_add_f64 v[24:25], v[192:193], -v[188:189]
	;; [unrolled: 2-line block ×3, first 2 shown]
	v_add_f64 v[28:29], v[16:17], -v[0:1]
	v_add_f64 v[30:31], v[0:1], -v[22:23]
	;; [unrolled: 1-line block ×3, first 2 shown]
	v_add_f64 v[0:1], v[24:25], v[20:21]
	v_add_f64 v[22:23], v[22:23], v[26:27]
	v_add_f64 v[32:33], v[24:25], -v[20:21]
	v_add_f64 v[24:25], v[4:5], -v[24:25]
	;; [unrolled: 1-line block ×3, first 2 shown]
	v_add_f64 v[4:5], v[0:1], v[4:5]
	v_add_f64 v[0:1], v[74:75], v[22:23]
	v_mul_f64 v[26:27], v[30:31], s[10:11]
	v_mul_f64 v[30:31], v[16:17], s[4:5]
	;; [unrolled: 1-line block ×3, first 2 shown]
	v_mov_b64_e32 v[74:75], v[0:1]
	v_mul_f64 v[34:35], v[20:21], s[12:13]
	v_fmac_f64_e32 v[74:75], s[16:17], v[22:23]
	v_fma_f64 v[22:23], v[28:29], s[18:19], -v[30:31]
	v_fma_f64 v[28:29], v[28:29], s[20:21], -v[26:27]
	v_fmac_f64_e32 v[26:27], s[4:5], v[16:17]
	v_fma_f64 v[16:17], v[20:21], s[12:13], -v[32:33]
	v_fmac_f64_e32 v[32:33], s[22:23], v[24:25]
	v_fma_f64 v[20:21], v[24:25], s[26:27], -v[34:35]
	v_add_f64 v[24:25], v[26:27], v[74:75]
	v_add_f64 v[22:23], v[22:23], v[74:75]
	v_fmac_f64_e32 v[32:33], s[24:25], v[4:5]
	v_fmac_f64_e32 v[16:17], s[24:25], v[4:5]
	v_add_f64 v[26:27], v[28:29], v[74:75]
	v_fmac_f64_e32 v[20:21], s[24:25], v[4:5]
	v_add_f64 v[28:29], v[24:25], -v[32:33]
	v_add_f64 v[30:31], v[16:17], v[22:23]
	v_add_f64 v[22:23], v[22:23], -v[16:17]
	v_add_f64 v[24:25], v[32:33], v[24:25]
	v_add_f64 v[16:17], v[186:187], v[58:59]
	;; [unrolled: 1-line block ×3, first 2 shown]
	v_add_f64 v[4:5], v[26:27], -v[20:21]
	v_add_f64 v[20:21], v[20:21], v[26:27]
	v_add_f64 v[26:27], v[56:57], -v[184:185]
	v_add_f64 v[34:35], v[52:53], -v[176:177]
	v_add_f64 v[52:53], v[174:175], v[110:111]
	v_add_f64 v[56:57], v[32:33], v[16:17]
	v_add_f64 v[54:55], v[172:173], -v[108:109]
	v_add_f64 v[58:59], v[32:33], -v[16:17]
	v_add_f64 v[16:17], v[16:17], -v[52:53]
	v_add_f64 v[32:33], v[52:53], -v[32:33]
	v_add_f64 v[52:53], v[52:53], v[56:57]
	v_add_f64 v[74:75], v[54:55], v[34:35]
	v_add_f64 v[88:89], v[54:55], -v[34:35]
	v_add_f64 v[34:35], v[34:35], -v[26:27]
	v_add_f64 v[2:3], v[2:3], v[52:53]
	v_add_f64 v[54:55], v[26:27], -v[54:55]
	v_add_f64 v[26:27], v[74:75], v[26:27]
	v_mul_f64 v[16:17], v[16:17], s[10:11]
	v_mul_f64 v[56:57], v[32:33], s[4:5]
	v_mul_f64 v[74:75], v[88:89], s[14:15]
	v_mul_f64 v[88:89], v[34:35], s[12:13]
	v_mov_b64_e32 v[90:91], v[2:3]
	v_fmac_f64_e32 v[90:91], s[16:17], v[52:53]
	v_fma_f64 v[52:53], v[58:59], s[18:19], -v[56:57]
	v_fma_f64 v[56:57], v[58:59], s[20:21], -v[16:17]
	v_fmac_f64_e32 v[16:17], s[4:5], v[32:33]
	v_fma_f64 v[32:33], v[34:35], s[12:13], -v[74:75]
	v_fmac_f64_e32 v[74:75], s[22:23], v[54:55]
	v_fma_f64 v[34:35], v[54:55], s[26:27], -v[88:89]
	v_add_f64 v[16:17], v[16:17], v[90:91]
	v_add_f64 v[52:53], v[52:53], v[90:91]
	v_add_f64 v[54:55], v[56:57], v[90:91]
	v_fmac_f64_e32 v[74:75], s[24:25], v[26:27]
	v_fmac_f64_e32 v[32:33], s[24:25], v[26:27]
	;; [unrolled: 1-line block ×3, first 2 shown]
	v_add_f64 v[26:27], v[16:17], -v[74:75]
	v_add_f64 v[56:57], v[54:55], -v[34:35]
	v_add_f64 v[58:59], v[32:33], v[52:53]
	v_add_f64 v[32:33], v[52:53], -v[32:33]
	v_add_f64 v[34:35], v[34:35], v[54:55]
	v_add_f64 v[52:53], v[74:75], v[16:17]
	;; [unrolled: 1-line block ×3, first 2 shown]
	v_add_f64 v[54:55], v[60:61], -v[168:169]
	v_add_f64 v[60:61], v[162:163], v[114:115]
	v_add_f64 v[74:75], v[158:159], v[78:79]
	;; [unrolled: 1-line block ×3, first 2 shown]
	v_add_f64 v[62:63], v[112:113], -v[160:161]
	v_add_f64 v[76:77], v[156:157], -v[76:77]
	;; [unrolled: 1-line block ×5, first 2 shown]
	v_add_f64 v[74:75], v[74:75], v[78:79]
	v_add_f64 v[90:91], v[76:77], v[62:63]
	v_add_f64 v[108:109], v[76:77], -v[62:63]
	v_add_f64 v[62:63], v[62:63], -v[54:55]
	v_add_f64 v[70:71], v[70:71], v[74:75]
	v_add_f64 v[76:77], v[54:55], -v[76:77]
	v_add_f64 v[54:55], v[90:91], v[54:55]
	v_mul_f64 v[16:17], v[16:17], s[10:11]
	v_mul_f64 v[78:79], v[60:61], s[4:5]
	;; [unrolled: 1-line block ×4, first 2 shown]
	v_mov_b64_e32 v[110:111], v[70:71]
	v_fmac_f64_e32 v[110:111], s[16:17], v[74:75]
	v_fma_f64 v[74:75], v[88:89], s[18:19], -v[78:79]
	v_fma_f64 v[78:79], v[88:89], s[20:21], -v[16:17]
	v_fmac_f64_e32 v[16:17], s[4:5], v[60:61]
	v_fma_f64 v[60:61], v[62:63], s[12:13], -v[90:91]
	v_fmac_f64_e32 v[90:91], s[22:23], v[76:77]
	v_fma_f64 v[62:63], v[76:77], s[26:27], -v[108:109]
	v_add_f64 v[16:17], v[16:17], v[110:111]
	v_add_f64 v[74:75], v[74:75], v[110:111]
	;; [unrolled: 1-line block ×3, first 2 shown]
	v_fmac_f64_e32 v[90:91], s[24:25], v[54:55]
	v_fmac_f64_e32 v[60:61], s[24:25], v[54:55]
	;; [unrolled: 1-line block ×3, first 2 shown]
	v_add_f64 v[78:79], v[16:17], -v[90:91]
	v_add_f64 v[88:89], v[76:77], -v[62:63]
	v_add_f64 v[108:109], v[60:61], v[74:75]
	v_add_f64 v[60:61], v[74:75], -v[60:61]
	v_add_f64 v[62:63], v[62:63], v[76:77]
	v_add_f64 v[74:75], v[90:91], v[16:17]
	;; [unrolled: 1-line block ×6, first 2 shown]
	v_add_f64 v[80:81], v[80:81], -v[140:141]
	v_add_f64 v[90:91], v[132:133], -v[136:137]
	;; [unrolled: 1-line block ×5, first 2 shown]
	v_add_f64 v[82:83], v[82:83], v[110:111]
	v_add_f64 v[54:55], v[120:121], -v[144:145]
	v_add_f64 v[114:115], v[90:91], v[80:81]
	v_add_f64 v[120:121], v[90:91], -v[80:81]
	;; [unrolled: 2-line block ×3, first 2 shown]
	v_add_f64 v[80:81], v[80:81], -v[54:55]
	v_add_f64 v[54:55], v[114:115], v[54:55]
	v_mul_f64 v[16:17], v[16:17], s[10:11]
	v_mul_f64 v[110:111], v[76:77], s[4:5]
	;; [unrolled: 1-line block ×3, first 2 shown]
	v_mov_b64_e32 v[122:123], v[6:7]
	v_mul_f64 v[120:121], v[80:81], s[12:13]
	v_fmac_f64_e32 v[122:123], s[16:17], v[82:83]
	v_fma_f64 v[82:83], v[112:113], s[18:19], -v[110:111]
	v_fma_f64 v[110:111], v[112:113], s[20:21], -v[16:17]
	v_fmac_f64_e32 v[16:17], s[4:5], v[76:77]
	v_fma_f64 v[76:77], v[80:81], s[12:13], -v[114:115]
	v_fmac_f64_e32 v[114:115], s[22:23], v[90:91]
	v_fma_f64 v[80:81], v[90:91], s[26:27], -v[120:121]
	v_add_f64 v[16:17], v[16:17], v[122:123]
	v_add_f64 v[82:83], v[82:83], v[122:123]
	v_fmac_f64_e32 v[114:115], s[24:25], v[54:55]
	v_fmac_f64_e32 v[76:77], s[24:25], v[54:55]
	v_add_f64 v[90:91], v[110:111], v[122:123]
	v_fmac_f64_e32 v[80:81], s[24:25], v[54:55]
	v_add_f64 v[110:111], v[16:17], -v[114:115]
	v_add_f64 v[120:121], v[76:77], v[82:83]
	v_add_f64 v[76:77], v[82:83], -v[76:77]
	v_add_f64 v[82:83], v[114:115], v[16:17]
	v_add_f64 v[16:17], v[130:131], v[86:87]
	v_add_f64 v[54:55], v[84:85], -v[128:129]
	v_add_f64 v[84:85], v[126:127], v[98:99]
	v_add_f64 v[112:113], v[90:91], -v[80:81]
	v_add_f64 v[80:81], v[80:81], v[90:91]
	v_add_f64 v[90:91], v[118:119], v[106:107]
	;; [unrolled: 1-line block ×3, first 2 shown]
	v_add_f64 v[86:87], v[96:97], -v[124:125]
	v_add_f64 v[96:97], v[116:117], -v[104:105]
	;; [unrolled: 1-line block ×5, first 2 shown]
	v_add_f64 v[90:91], v[90:91], v[98:99]
	v_add_f64 v[106:107], v[96:97], v[86:87]
	v_add_f64 v[114:115], v[96:97], -v[86:87]
	v_add_f64 v[86:87], v[86:87], -v[54:55]
	v_add_f64 v[66:67], v[66:67], v[90:91]
	v_add_f64 v[96:97], v[54:55], -v[96:97]
	v_add_f64 v[54:55], v[106:107], v[54:55]
	v_mul_f64 v[16:17], v[16:17], s[10:11]
	v_mul_f64 v[98:99], v[84:85], s[4:5]
	v_mul_f64 v[106:107], v[114:115], s[14:15]
	v_mul_f64 v[114:115], v[86:87], s[12:13]
	v_mov_b64_e32 v[116:117], v[66:67]
	v_fmac_f64_e32 v[116:117], s[16:17], v[90:91]
	v_fma_f64 v[90:91], v[104:105], s[18:19], -v[98:99]
	v_fma_f64 v[98:99], v[104:105], s[20:21], -v[16:17]
	v_fmac_f64_e32 v[16:17], s[4:5], v[84:85]
	v_fma_f64 v[84:85], v[86:87], s[12:13], -v[106:107]
	v_fmac_f64_e32 v[106:107], s[22:23], v[96:97]
	v_fma_f64 v[86:87], v[96:97], s[26:27], -v[114:115]
	v_add_f64 v[96:97], v[16:17], v[116:117]
	v_add_f64 v[16:17], v[90:91], v[116:117]
	;; [unrolled: 1-line block ×3, first 2 shown]
	v_fmac_f64_e32 v[106:107], s[24:25], v[54:55]
	v_fmac_f64_e32 v[84:85], s[24:25], v[54:55]
	;; [unrolled: 1-line block ×3, first 2 shown]
	v_add_f64 v[98:99], v[96:97], -v[106:107]
	v_add_f64 v[104:105], v[90:91], -v[86:87]
	v_add_f64 v[114:115], v[84:85], v[16:17]
	v_add_f64 v[84:85], v[16:17], -v[84:85]
	v_add_f64 v[16:17], v[86:87], v[90:91]
	v_add_f64 v[54:55], v[106:107], v[96:97]
	s_waitcnt lgkmcnt(0)
	; wave barrier
	s_waitcnt lgkmcnt(0)
	ds_write2_b64 v72, v[0:1], v[28:29] offset1:1
	ds_write2_b64 v72, v[4:5], v[30:31] offset0:2 offset1:3
	ds_write2_b64 v72, v[22:23], v[20:21] offset0:4 offset1:5
	ds_write_b64 v72, v[24:25] offset:48
	ds_write2_b64 v73, v[2:3], v[26:27] offset1:1
	ds_write2_b64 v236, v[56:57], v[58:59] offset1:1
	ds_write2_b64 v237, v[32:33], v[34:35] offset1:1
	ds_write_b64 v72, v[52:53] offset:3128
	ds_write2_b64 v68, v[70:71], v[78:79] offset1:1
	ds_write2_b64 v69, v[88:89], v[108:109] offset1:1
	ds_write2_b64 v238, v[60:61], v[62:63] offset1:1
	;; [unrolled: 4-line block ×4, first 2 shown]
	ds_write_b64 v72, v[54:55] offset:12368
	s_waitcnt lgkmcnt(0)
	; wave barrier
	s_waitcnt lgkmcnt(0)
	ds_read2_b64 v[4:7], v230 offset1:55
	ds_read2_b64 v[0:3], v230 offset0:110 offset1:175
	ds_read2_b64 v[136:139], v244 offset0:94 offset1:149
	;; [unrolled: 1-line block ×13, first 2 shown]
	ds_read2_b64 v[80:83], v247 offset1:55
	ds_read2_b64 v[72:75], v248 offset0:94 offset1:149
	ds_read_b64 v[178:179], v230 offset:14880
	v_accvgpr_write_b32 a28, v230           ;  Reload Reuse
                                        ; implicit-def: $vgpr162_vgpr163
                                        ; implicit-def: $vgpr58_vgpr59
                                        ; implicit-def: $vgpr62_vgpr63
                                        ; implicit-def: $vgpr66_vgpr67
                                        ; implicit-def: $vgpr70_vgpr71
	s_and_saveexec_b64 s[4:5], s[0:1]
	s_cbranch_execz .LBB0_17
; %bb.16:
	v_lshl_add_u32 v17, v235, 3, 0
	v_add_u32_e32 v16, 0x400, v17
	ds_read2_b64 v[52:55], v16 offset0:37 offset1:212
	v_add_u32_e32 v16, 0x1000, v17
	ds_read2_b64 v[68:71], v16 offset0:3 offset1:178
	;; [unrolled: 2-line block ×5, first 2 shown]
	ds_read_b64 v[162:163], v17 offset:15320
	s_waitcnt lgkmcnt(5)
	v_mov_b64_e32 v[16:17], v[52:53]
.LBB0_17:
	s_or_b64 exec, exec, s[4:5]
	v_mov_b32_e32 v244, 37
	v_mul_lo_u16_sdwa v20, v235, v244 dst_sel:DWORD dst_unused:UNUSED_PAD src0_sel:BYTE_0 src1_sel:DWORD
	v_sub_u16_sdwa v21, v235, v20 dst_sel:DWORD dst_unused:UNUSED_PAD src0_sel:DWORD src1_sel:BYTE_1
	v_lshrrev_b16_e32 v21, 1, v21
	v_and_b32_e32 v21, 0x7f, v21
	v_add_u16_sdwa v20, v21, v20 dst_sel:DWORD dst_unused:UNUSED_PAD src0_sel:DWORD src1_sel:BYTE_1
	v_lshrrev_b16_e32 v21, 2, v20
	v_mul_lo_u16_e32 v20, 7, v21
	v_accvgpr_write_b32 a2, v21
	v_sub_u16_e32 v21, v235, v20
	v_mov_b32_e32 v245, 10
	v_add_u32_e32 v22, 55, v235
	v_mul_u32_u24_sdwa v20, v21, v245 dst_sel:DWORD dst_unused:UNUSED_PAD src0_sel:BYTE_0 src1_sel:DWORD
	v_lshlrev_b32_e32 v194, 4, v20
	v_mul_lo_u16_sdwa v20, v22, v244 dst_sel:DWORD dst_unused:UNUSED_PAD src0_sel:BYTE_0 src1_sel:DWORD
	v_accvgpr_write_b32 a3, v21
	global_load_dwordx4 v[140:143], v194, s[8:9] offset:16
	v_sub_u16_sdwa v21, v22, v20 dst_sel:DWORD dst_unused:UNUSED_PAD src0_sel:DWORD src1_sel:BYTE_1
	v_lshrrev_b16_e32 v21, 1, v21
	v_and_b32_e32 v21, 0x7f, v21
	v_add_u16_sdwa v20, v21, v20 dst_sel:DWORD dst_unused:UNUSED_PAD src0_sel:DWORD src1_sel:BYTE_1
	v_lshrrev_b16_e32 v21, 2, v20
	v_mul_lo_u16_e32 v20, 7, v21
	v_accvgpr_write_b32 a4, v21
	v_sub_u16_e32 v21, v22, v20
	v_mul_u32_u24_sdwa v20, v21, v245 dst_sel:DWORD dst_unused:UNUSED_PAD src0_sel:BYTE_0 src1_sel:DWORD
	v_lshlrev_b32_e32 v195, 4, v20
	global_load_dwordx4 v[144:147], v195, s[8:9] offset:16
	global_load_dwordx4 v[156:159], v194, s[8:9] offset:48
	;; [unrolled: 1-line block ×9, first 2 shown]
	v_accvgpr_write_b32 a0, v22
	v_add_u32_e32 v22, 0x6e, v235
	v_mul_lo_u16_sdwa v20, v22, v244 dst_sel:DWORD dst_unused:UNUSED_PAD src0_sel:BYTE_0 src1_sel:DWORD
	v_accvgpr_write_b32 a5, v21
	v_sub_u16_sdwa v21, v22, v20 dst_sel:DWORD dst_unused:UNUSED_PAD src0_sel:DWORD src1_sel:BYTE_1
	v_lshrrev_b16_e32 v21, 1, v21
	v_and_b32_e32 v21, 0x7f, v21
	v_add_u16_sdwa v20, v21, v20 dst_sel:DWORD dst_unused:UNUSED_PAD src0_sel:DWORD src1_sel:BYTE_1
	v_lshrrev_b16_e32 v21, 2, v20
	v_mul_lo_u16_e32 v20, 7, v21
	global_load_dwordx4 v[230:233], v195, s[8:9]
	v_accvgpr_write_b32 a26, v21
	v_sub_u16_e32 v21, v22, v20
	v_mul_u32_u24_sdwa v20, v21, v245 dst_sel:DWORD dst_unused:UNUSED_PAD src0_sel:BYTE_0 src1_sel:DWORD
	v_lshlrev_b32_e32 v234, 4, v20
	v_accvgpr_write_b32 a1, v22
	v_accvgpr_write_b32 a27, v21
	global_load_dwordx4 v[20:23], v234, s[8:9]
	global_load_dwordx4 v[216:219], v194, s[8:9] offset:32
	global_load_dwordx4 v[132:135], v194, s[8:9]
	global_load_dwordx4 v[240:243], v194, s[8:9] offset:64
	s_mov_b32 s16, 0xf8bb580b
	s_mov_b32 s26, 0x8eee2c13
	;; [unrolled: 1-line block ×28, first 2 shown]
	s_waitcnt vmcnt(14) lgkmcnt(14)
	v_mul_f64 v[24:25], v[136:137], v[142:143]
	v_fma_f64 v[254:255], v[220:221], v[140:141], -v[24:25]
	global_load_dwordx4 v[24:27], v194, s[8:9] offset:96
	s_waitcnt vmcnt(14)
	v_mul_f64 v[28:29], v[138:139], v[146:147]
	v_mul_f64 v[188:189], v[220:221], v[142:143]
	v_fma_f64 v[186:187], v[222:223], v[144:145], -v[28:29]
	v_mul_f64 v[168:169], v[222:223], v[146:147]
	global_load_dwordx4 v[220:223], v195, s[8:9] offset:32
	s_waitcnt vmcnt(14) lgkmcnt(12)
	v_mul_f64 v[28:29], v[128:129], v[158:159]
	v_mul_f64 v[180:181], v[212:213], v[158:159]
	v_fma_f64 v[158:159], v[212:213], v[156:157], -v[28:29]
	global_load_dwordx4 v[28:31], v234, s[8:9] offset:16
	s_waitcnt vmcnt(14)
	v_mul_f64 v[32:33], v[130:131], v[172:173]
	v_fma_f64 v[52:53], v[214:215], v[170:171], -v[32:33]
	global_load_dwordx4 v[32:35], v234, s[8:9] offset:32
	s_waitcnt vmcnt(14)
	v_mul_f64 v[184:185], v[208:209], v[176:177]
	v_fmac_f64_e32 v[180:181], v[128:129], v[156:157]
	s_waitcnt lgkmcnt(10)
	v_mul_f64 v[128:129], v[124:125], v[176:177]
	v_fmac_f64_e32 v[184:185], v[124:125], v[174:175]
	s_waitcnt vmcnt(13)
	v_mul_f64 v[124:125], v[126:127], v[192:193]
	v_mul_f64 v[156:157], v[210:211], v[192:193]
	s_waitcnt vmcnt(12)
	v_mul_f64 v[192:193], v[200:201], v[206:207]
	v_fmac_f64_e32 v[188:189], v[136:137], v[140:141]
	v_mul_f64 v[160:161], v[214:215], v[172:173]
	v_fma_f64 v[182:183], v[210:211], v[190:191], -v[124:125]
	global_load_dwordx4 v[140:143], v234, s[8:9] offset:48
	s_waitcnt lgkmcnt(8)
	v_mul_f64 v[124:125], v[120:121], v[206:207]
	v_fmac_f64_e32 v[192:193], v[120:121], v[204:205]
	s_waitcnt vmcnt(12)
	v_mul_f64 v[120:121], v[122:123], v[248:249]
	v_mul_f64 v[172:173], v[202:203], v[248:249]
	v_fmac_f64_e32 v[168:169], v[138:139], v[144:145]
	v_fmac_f64_e32 v[160:161], v[130:131], v[170:171]
	global_load_dwordx4 v[136:139], v195, s[8:9] offset:64
	v_fma_f64 v[170:171], v[202:203], v[246:247], -v[120:121]
	v_fmac_f64_e32 v[172:173], v[122:123], v[246:247]
	global_load_dwordx4 v[246:249], v234, s[8:9] offset:64
	v_fmac_f64_e32 v[156:157], v[126:127], v[190:191]
	v_fma_f64 v[190:191], v[200:201], v[204:205], -v[124:125]
	s_waitcnt vmcnt(13) lgkmcnt(6)
	v_mul_f64 v[124:125], v[116:117], v[252:253]
	v_mul_f64 v[204:205], v[196:197], v[252:253]
	v_fma_f64 v[202:203], v[196:197], v[250:251], -v[124:125]
	s_waitcnt vmcnt(11)
	v_mul_f64 v[196:197], v[164:165], v[232:233]
	s_waitcnt lgkmcnt(5)
	v_mul_f64 v[144:145], v[112:113], v[232:233]
	v_fmac_f64_e32 v[196:197], v[112:113], v[230:231]
	s_waitcnt vmcnt(10)
	v_mul_f64 v[112:113], v[114:115], v[22:23]
	v_fma_f64 v[214:215], v[208:209], v[174:175], -v[128:129]
	global_load_dwordx4 v[128:131], v195, s[8:9] offset:96
	global_load_dwordx4 v[124:127], v195, s[8:9] offset:128
	;; [unrolled: 1-line block ×3, first 2 shown]
	v_fma_f64 v[194:195], v[164:165], v[230:231], -v[144:145]
	v_fma_f64 v[164:165], v[166:167], v[20:21], -v[112:113]
	v_mul_f64 v[166:167], v[166:167], v[22:23]
	v_fmac_f64_e32 v[166:167], v[114:115], v[20:21]
	s_waitcnt vmcnt(12)
	v_mul_f64 v[20:21], v[110:111], v[218:219]
	v_fmac_f64_e32 v[204:205], v[116:117], v[250:251]
	v_mul_f64 v[116:117], v[118:119], v[238:239]
	v_fma_f64 v[210:211], v[154:155], v[216:217], -v[20:21]
	s_waitcnt vmcnt(10)
	v_mul_f64 v[20:21], v[98:99], v[242:243]
	v_fma_f64 v[174:175], v[198:199], v[236:237], -v[116:117]
	v_mul_f64 v[176:177], v[198:199], v[238:239]
	v_fma_f64 v[198:199], v[102:103], v[240:241], -v[20:21]
	v_fmac_f64_e32 v[176:177], v[118:119], v[236:237]
	global_load_dwordx4 v[116:119], v234, s[8:9] offset:80
	global_load_dwordx4 v[144:147], v234, s[8:9] offset:96
	v_mul_f64 v[212:213], v[154:155], v[218:219]
	v_mul_f64 v[200:201], v[102:103], v[242:243]
	v_fmac_f64_e32 v[200:201], v[98:99], v[240:241]
	global_load_dwordx4 v[112:115], v234, s[8:9] offset:112
	v_fmac_f64_e32 v[212:213], v[110:111], v[216:217]
	s_waitcnt vmcnt(12)
	v_mul_f64 v[20:21], v[86:87], v[26:27]
	v_fma_f64 v[206:207], v[50:51], v[24:25], -v[20:21]
	v_mul_f64 v[208:209], v[50:51], v[26:27]
	v_fmac_f64_e32 v[208:209], v[86:87], v[24:25]
	s_waitcnt vmcnt(11) lgkmcnt(4)
	v_mul_f64 v[20:21], v[104:105], v[222:223]
	v_fma_f64 v[154:155], v[148:149], v[220:221], -v[20:21]
	v_mul_f64 v[148:149], v[148:149], v[222:223]
	v_add_u32_e32 v223, 0xa5, v235
	s_waitcnt vmcnt(10)
	v_mul_f64 v[20:21], v[108:109], v[30:31]
	v_mul_f64 v[102:103], v[152:153], v[30:31]
	v_fma_f64 v[98:99], v[152:153], v[28:29], -v[20:21]
	v_fmac_f64_e32 v[102:103], v[108:109], v[28:29]
	v_mul_lo_u16_sdwa v28, v223, v244 dst_sel:DWORD dst_unused:UNUSED_PAD src0_sel:BYTE_0 src1_sel:DWORD
	v_sub_u16_sdwa v29, v223, v28 dst_sel:DWORD dst_unused:UNUSED_PAD src0_sel:DWORD src1_sel:BYTE_1
	v_lshrrev_b16_e32 v29, 1, v29
	v_and_b32_e32 v29, 0x7f, v29
	s_waitcnt vmcnt(9)
	v_mul_f64 v[20:21], v[106:107], v[34:35]
	v_add_u16_sdwa v28, v29, v28 dst_sel:DWORD dst_unused:UNUSED_PAD src0_sel:DWORD src1_sel:BYTE_1
	v_fmac_f64_e32 v[148:149], v[104:105], v[220:221]
	v_fma_f64 v[50:51], v[150:151], v[32:33], -v[20:21]
	global_load_dwordx4 v[20:23], v234, s[8:9] offset:144
	global_load_dwordx4 v[24:27], v234, s[8:9] offset:128
	v_lshrrev_b16_e32 v221, 2, v28
	v_mul_lo_u16_e32 v28, 7, v221
	v_sub_u16_e32 v222, v223, v28
	v_mul_u32_u24_sdwa v28, v222, v245 dst_sel:DWORD dst_unused:UNUSED_PAD src0_sel:BYTE_0 src1_sel:DWORD
	v_mul_f64 v[86:87], v[150:151], v[34:35]
	v_lshlrev_b32_e32 v152, 4, v28
	v_fmac_f64_e32 v[86:87], v[106:107], v[32:33]
	global_load_dwordx4 v[28:31], v152, s[8:9]
	global_load_dwordx4 v[32:35], v152, s[8:9] offset:16
	global_load_dwordx4 v[106:109], v152, s[8:9] offset:32
	;; [unrolled: 1-line block ×3, first 2 shown]
	s_waitcnt vmcnt(14)
	v_mul_f64 v[104:105], v[96:97], v[142:143]
	v_fma_f64 v[110:111], v[100:101], v[140:141], -v[104:105]
	v_mul_f64 v[142:143], v[100:101], v[142:143]
	s_waitcnt vmcnt(13) lgkmcnt(3)
	v_mul_f64 v[100:101], v[88:89], v[138:139]
	v_mul_f64 v[138:139], v[92:93], v[138:139]
	s_waitcnt vmcnt(12)
	v_mul_f64 v[104:105], v[94:95], v[248:249]
	v_fma_f64 v[150:151], v[92:93], v[136:137], -v[100:101]
	v_fmac_f64_e32 v[138:139], v[88:89], v[136:137]
	v_mul_f64 v[88:89], v[90:91], v[248:249]
	v_fmac_f64_e32 v[104:105], v[90:91], v[246:247]
	global_load_dwordx4 v[90:93], v152, s[8:9] offset:64
	global_load_dwordx4 v[236:239], v152, s[8:9] offset:80
	;; [unrolled: 1-line block ×3, first 2 shown]
	v_fma_f64 v[100:101], v[94:95], v[246:247], -v[88:89]
	global_load_dwordx4 v[244:247], v152, s[8:9] offset:112
	global_load_dwordx4 v[248:251], v152, s[8:9] offset:128
	;; [unrolled: 1-line block ×3, first 2 shown]
	v_fmac_f64_e32 v[142:143], v[96:97], v[140:141]
	v_mov_b32_e32 v220, v235
	s_waitcnt lgkmcnt(0)
	; wave barrier
	s_waitcnt vmcnt(14) lgkmcnt(0)
	v_mul_f64 v[88:89], v[84:85], v[118:119]
	v_fma_f64 v[136:137], v[48:49], v[116:117], -v[88:89]
	v_mul_f64 v[118:119], v[48:49], v[118:119]
	v_mul_f64 v[48:49], v[80:81], v[130:131]
	v_fma_f64 v[140:141], v[44:45], v[128:129], -v[48:49]
	v_mul_f64 v[130:131], v[44:45], v[130:131]
	s_waitcnt vmcnt(13)
	v_mul_f64 v[44:45], v[82:83], v[146:147]
	v_fmac_f64_e32 v[130:131], v[80:81], v[128:129]
	v_fma_f64 v[80:81], v[46:47], v[144:145], -v[44:45]
	v_mul_f64 v[44:45], v[2:3], v[134:135]
	v_mul_f64 v[134:135], v[10:11], v[134:135]
	v_fmac_f64_e32 v[118:119], v[84:85], v[116:117]
	v_mul_f64 v[84:85], v[46:47], v[146:147]
	v_fmac_f64_e32 v[134:135], v[2:3], v[132:133]
	;; [unrolled: 2-line block ×3, first 2 shown]
	v_fma_f64 v[128:129], v[10:11], v[132:133], -v[44:45]
	v_fma_f64 v[132:133], v[42:43], v[120:121], -v[2:3]
	v_mul_f64 v[144:145], v[42:43], v[122:123]
	v_mul_f64 v[2:3], v[72:73], v[126:127]
	v_fmac_f64_e32 v[144:145], v[78:79], v[120:121]
	v_fma_f64 v[78:79], v[36:37], v[124:125], -v[2:3]
	v_mul_f64 v[82:83], v[36:37], v[126:127]
	s_waitcnt vmcnt(12)
	v_mul_f64 v[2:3], v[76:77], v[114:115]
	v_fma_f64 v[2:3], v[40:41], v[112:113], -v[2:3]
	v_mul_f64 v[10:11], v[40:41], v[114:115]
	v_fmac_f64_e32 v[10:11], v[76:77], v[112:113]
	v_fmac_f64_e32 v[82:83], v[72:73], v[124:125]
	s_waitcnt vmcnt(10)
	v_mul_f64 v[36:37], v[74:75], v[26:27]
	v_fma_f64 v[36:37], v[38:39], v[24:25], -v[36:37]
	v_mul_f64 v[38:39], v[38:39], v[26:27]
	v_accvgpr_read_b32 v27, a13
	v_accvgpr_read_b32 v26, a12
	v_fmac_f64_e32 v[38:39], v[74:75], v[24:25]
	v_mul_f64 v[24:25], v[178:179], v[22:23]
	v_mul_f64 v[42:43], v[26:27], v[22:23]
	v_fma_f64 v[40:41], v[26:27], v[20:21], -v[24:25]
	v_fmac_f64_e32 v[42:43], v[178:179], v[20:21]
	s_waitcnt vmcnt(9)
	v_mul_f64 v[20:21], v[54:55], v[30:31]
	v_fma_f64 v[120:121], v[18:19], v[28:29], -v[20:21]
	v_accvgpr_read_b32 v20, a22
	v_mul_f64 v[122:123], v[18:19], v[30:31]
	s_waitcnt vmcnt(8)
	v_mul_f64 v[18:19], v[68:69], v[34:35]
	v_accvgpr_read_b32 v21, a23
	v_accvgpr_read_b32 v22, a24
	;; [unrolled: 1-line block ×3, first 2 shown]
	v_fma_f64 v[112:113], v[20:21], v[32:33], -v[18:19]
	s_waitcnt vmcnt(7)
	v_mul_f64 v[18:19], v[70:71], v[108:109]
	v_mul_f64 v[114:115], v[20:21], v[34:35]
	v_fma_f64 v[94:95], v[22:23], v[106:107], -v[18:19]
	v_mul_f64 v[96:97], v[22:23], v[108:109]
	v_accvgpr_read_b32 v23, a21
	s_waitcnt vmcnt(6)
	v_mul_f64 v[18:19], v[64:65], v[232:233]
	v_accvgpr_read_b32 v21, a19
	v_accvgpr_read_b32 v20, a18
	v_fmac_f64_e32 v[122:123], v[54:55], v[28:29]
	v_accvgpr_read_b32 v22, a20
	v_fma_f64 v[54:55], v[20:21], v[230:231], -v[18:19]
	s_waitcnt vmcnt(5)
	v_mul_f64 v[18:19], v[66:67], v[92:93]
	v_fma_f64 v[18:19], v[22:23], v[90:91], -v[18:19]
	v_mul_f64 v[44:45], v[22:23], v[92:93]
	v_accvgpr_read_b32 v25, a17
	v_mul_f64 v[88:89], v[20:21], v[232:233]
	s_waitcnt vmcnt(4)
	v_mul_f64 v[20:21], v[60:61], v[238:239]
	v_accvgpr_read_b32 v23, a15
	v_accvgpr_read_b32 v22, a14
	;; [unrolled: 1-line block ×3, first 2 shown]
	v_fma_f64 v[46:47], v[22:23], v[236:237], -v[20:21]
	s_waitcnt vmcnt(3)
	v_mul_f64 v[20:21], v[62:63], v[242:243]
	v_fmac_f64_e32 v[44:45], v[66:67], v[90:91]
	v_mul_f64 v[48:49], v[22:23], v[238:239]
	v_fma_f64 v[90:91], v[24:25], v[240:241], -v[20:21]
	v_mul_f64 v[92:93], v[24:25], v[242:243]
	v_accvgpr_read_b32 v25, a11
	s_waitcnt vmcnt(2)
	v_mul_f64 v[20:21], v[56:57], v[246:247]
	v_accvgpr_read_b32 v23, a9
	v_accvgpr_read_b32 v22, a8
	v_fmac_f64_e32 v[96:97], v[70:71], v[106:107]
	v_accvgpr_read_b32 v24, a10
	v_fma_f64 v[106:107], v[22:23], v[244:245], -v[20:21]
	v_mul_f64 v[108:109], v[22:23], v[246:247]
	s_waitcnt vmcnt(1)
	v_mul_f64 v[20:21], v[58:59], v[250:251]
	v_accvgpr_read_b32 v23, a7
	v_fmac_f64_e32 v[108:109], v[56:57], v[244:245]
	v_fma_f64 v[56:57], v[24:25], v[248:249], -v[20:21]
	v_mul_f64 v[116:117], v[24:25], v[250:251]
	s_waitcnt vmcnt(0)
	v_mul_f64 v[20:21], v[162:163], v[218:219]
	v_accvgpr_read_b32 v22, a6
	v_add_f64 v[24:25], v[134:135], -v[204:205]
	v_fmac_f64_e32 v[48:49], v[60:61], v[236:237]
	v_fma_f64 v[124:125], v[22:23], v[216:217], -v[20:21]
	v_mul_f64 v[126:127], v[22:23], v[218:219]
	v_add_f64 v[22:23], v[128:129], v[202:203]
	v_mul_f64 v[26:27], v[24:25], s[16:17]
	v_mul_f64 v[30:31], v[24:25], s[26:27]
	;; [unrolled: 1-line block ×5, first 2 shown]
	v_fmac_f64_e32 v[114:115], v[68:69], v[32:33]
	v_fmac_f64_e32 v[88:89], v[64:65], v[230:231]
	;; [unrolled: 1-line block ×4, first 2 shown]
	v_fma_f64 v[28:29], v[22:23], s[4:5], -v[26:27]
	v_fmac_f64_e32 v[26:27], s[4:5], v[22:23]
	v_fma_f64 v[32:33], v[22:23], s[10:11], -v[30:31]
	v_fmac_f64_e32 v[30:31], s[10:11], v[22:23]
	;; [unrolled: 2-line block ×5, first 2 shown]
	v_add_f64 v[20:21], v[12:13], v[128:129]
	v_add_f64 v[28:29], v[12:13], v[28:29]
	;; [unrolled: 1-line block ×11, first 2 shown]
	v_add_f64 v[24:25], v[188:189], -v[144:145]
	v_add_f64 v[22:23], v[254:255], v[132:133]
	v_mul_f64 v[66:67], v[24:25], s[26:27]
	v_fma_f64 v[68:69], v[22:23], s[10:11], -v[66:67]
	v_fmac_f64_e32 v[66:67], s[10:11], v[22:23]
	v_add_f64 v[26:27], v[66:67], v[26:27]
	v_mul_f64 v[66:67], v[24:25], s[18:19]
	v_add_f64 v[28:29], v[68:69], v[28:29]
	v_fma_f64 v[68:69], v[22:23], s[20:21], -v[66:67]
	v_fmac_f64_e32 v[66:67], s[20:21], v[22:23]
	v_add_f64 v[30:31], v[66:67], v[30:31]
	v_mul_f64 v[66:67], v[24:25], s[36:37]
	v_add_f64 v[32:33], v[68:69], v[32:33]
	;; [unrolled: 5-line block ×3, first 2 shown]
	v_fma_f64 v[68:69], v[22:23], s[14:15], -v[66:67]
	v_fmac_f64_e32 v[66:67], s[14:15], v[22:23]
	v_mul_f64 v[24:25], v[24:25], s[28:29]
	v_add_f64 v[60:61], v[66:67], v[60:61]
	v_fma_f64 v[66:67], v[22:23], s[4:5], -v[24:25]
	v_fmac_f64_e32 v[24:25], s[4:5], v[22:23]
	v_add_f64 v[12:13], v[24:25], v[12:13]
	v_add_f64 v[24:25], v[212:213], -v[192:193]
	v_add_f64 v[64:65], v[66:67], v[64:65]
	v_add_f64 v[22:23], v[210:211], v[190:191]
	v_mul_f64 v[66:67], v[24:25], s[12:13]
	v_add_f64 v[62:63], v[68:69], v[62:63]
	v_fma_f64 v[68:69], v[22:23], s[14:15], -v[66:67]
	v_fmac_f64_e32 v[66:67], s[14:15], v[22:23]
	v_add_f64 v[26:27], v[66:67], v[26:27]
	v_mul_f64 v[66:67], v[24:25], s[36:37]
	v_add_f64 v[28:29], v[68:69], v[28:29]
	v_fma_f64 v[68:69], v[22:23], s[24:25], -v[66:67]
	v_fmac_f64_e32 v[66:67], s[24:25], v[22:23]
	;; [unrolled: 5-line block ×4, first 2 shown]
	v_mul_f64 v[24:25], v[24:25], s[18:19]
	v_add_f64 v[60:61], v[66:67], v[60:61]
	v_fma_f64 v[66:67], v[22:23], s[20:21], -v[24:25]
	v_fmac_f64_e32 v[24:25], s[20:21], v[22:23]
	v_add_f64 v[12:13], v[24:25], v[12:13]
	v_add_f64 v[24:25], v[180:181], -v[208:209]
	v_add_f64 v[64:65], v[66:67], v[64:65]
	v_add_f64 v[22:23], v[158:159], v[206:207]
	v_mul_f64 v[66:67], v[24:25], s[18:19]
	v_add_f64 v[62:63], v[68:69], v[62:63]
	v_fma_f64 v[68:69], v[22:23], s[20:21], -v[66:67]
	v_fmac_f64_e32 v[66:67], s[20:21], v[22:23]
	v_add_f64 v[26:27], v[66:67], v[26:27]
	v_mul_f64 v[66:67], v[24:25], s[34:35]
	v_add_f64 v[28:29], v[68:69], v[28:29]
	v_fma_f64 v[68:69], v[22:23], s[14:15], -v[66:67]
	v_fmac_f64_e32 v[66:67], s[14:15], v[22:23]
	;; [unrolled: 5-line block ×4, first 2 shown]
	v_mul_f64 v[24:25], v[24:25], s[30:31]
	v_add_f64 v[60:61], v[66:67], v[60:61]
	v_fma_f64 v[66:67], v[22:23], s[10:11], -v[24:25]
	v_fmac_f64_e32 v[24:25], s[10:11], v[22:23]
	v_add_f64 v[70:71], v[200:201], -v[184:185]
	v_add_f64 v[62:63], v[68:69], v[62:63]
	v_add_f64 v[64:65], v[66:67], v[64:65]
	;; [unrolled: 1-line block ×4, first 2 shown]
	v_mul_f64 v[12:13], v[70:71], s[22:23]
	v_fma_f64 v[22:23], v[68:69], s[24:25], -v[12:13]
	v_fmac_f64_e32 v[12:13], s[24:25], v[68:69]
	v_add_f64 v[12:13], v[12:13], v[26:27]
	v_mul_f64 v[26:27], v[70:71], s[28:29]
	v_fma_f64 v[24:25], v[68:69], s[4:5], -v[26:27]
	v_fmac_f64_e32 v[26:27], s[4:5], v[68:69]
	v_add_f64 v[26:27], v[26:27], v[30:31]
	v_mul_f64 v[30:31], v[70:71], s[18:19]
	v_add_f64 v[22:23], v[22:23], v[28:29]
	v_fma_f64 v[28:29], v[68:69], s[20:21], -v[30:31]
	v_fmac_f64_e32 v[30:31], s[20:21], v[68:69]
	v_add_f64 v[30:31], v[30:31], v[34:35]
	v_mul_f64 v[34:35], v[70:71], s[30:31]
	v_add_f64 v[24:25], v[24:25], v[32:33]
	;; [unrolled: 5-line block ×3, first 2 shown]
	v_fma_f64 v[58:59], v[68:69], s[14:15], -v[60:61]
	v_fmac_f64_e32 v[60:61], s[14:15], v[68:69]
	v_add_f64 v[60:61], v[60:61], v[66:67]
	v_add_f64 v[66:67], v[196:197], -v[176:177]
	v_add_f64 v[58:59], v[58:59], v[64:65]
	v_add_f64 v[64:65], v[194:195], v[174:175]
	v_mul_f64 v[68:69], v[66:67], s[16:17]
	v_mul_f64 v[72:73], v[66:67], s[26:27]
	;; [unrolled: 1-line block ×5, first 2 shown]
	v_fmac_f64_e32 v[126:127], v[162:163], v[216:217]
	v_fma_f64 v[70:71], v[64:65], s[4:5], -v[68:69]
	v_fmac_f64_e32 v[68:69], s[4:5], v[64:65]
	v_fma_f64 v[74:75], v[64:65], s[10:11], -v[72:73]
	;; [unrolled: 2-line block ×5, first 2 shown]
	v_fmac_f64_e32 v[66:67], s[24:25], v[64:65]
	v_mov_b64_e32 v[250:251], v[52:53]
	v_mov_b64_e32 v[52:53], v[186:187]
	v_add_f64 v[32:33], v[32:33], v[62:63]
	v_add_f64 v[62:63], v[14:15], v[194:195]
	;; [unrolled: 1-line block ×12, first 2 shown]
	v_add_f64 v[66:67], v[168:169], -v[82:83]
	v_add_f64 v[64:65], v[52:53], v[78:79]
	v_mul_f64 v[216:217], v[66:67], s[26:27]
	v_fma_f64 v[218:219], v[64:65], s[10:11], -v[216:217]
	v_fmac_f64_e32 v[216:217], s[10:11], v[64:65]
	v_add_f64 v[68:69], v[216:217], v[68:69]
	v_mul_f64 v[216:217], v[66:67], s[18:19]
	v_add_f64 v[70:71], v[218:219], v[70:71]
	v_fma_f64 v[218:219], v[64:65], s[20:21], -v[216:217]
	v_fmac_f64_e32 v[216:217], s[20:21], v[64:65]
	v_add_f64 v[72:73], v[216:217], v[72:73]
	v_mul_f64 v[216:217], v[66:67], s[36:37]
	v_add_f64 v[74:75], v[218:219], v[74:75]
	;; [unrolled: 5-line block ×3, first 2 shown]
	v_fma_f64 v[218:219], v[64:65], s[14:15], -v[216:217]
	v_fmac_f64_e32 v[216:217], s[14:15], v[64:65]
	v_mul_f64 v[66:67], v[66:67], s[28:29]
	v_add_f64 v[152:153], v[216:217], v[152:153]
	v_fma_f64 v[216:217], v[64:65], s[4:5], -v[66:67]
	v_fmac_f64_e32 v[66:67], s[4:5], v[64:65]
	v_add_f64 v[14:15], v[66:67], v[14:15]
	v_add_f64 v[66:67], v[148:149], -v[172:173]
	v_add_f64 v[178:179], v[216:217], v[178:179]
	v_add_f64 v[64:65], v[154:155], v[170:171]
	v_mul_f64 v[216:217], v[66:67], s[12:13]
	v_add_f64 v[162:163], v[218:219], v[162:163]
	v_fma_f64 v[218:219], v[64:65], s[14:15], -v[216:217]
	v_fmac_f64_e32 v[216:217], s[14:15], v[64:65]
	v_add_f64 v[68:69], v[216:217], v[68:69]
	v_mul_f64 v[216:217], v[66:67], s[36:37]
	v_add_f64 v[70:71], v[218:219], v[70:71]
	v_fma_f64 v[218:219], v[64:65], s[24:25], -v[216:217]
	v_fmac_f64_e32 v[216:217], s[24:25], v[64:65]
	;; [unrolled: 5-line block ×4, first 2 shown]
	v_mul_f64 v[66:67], v[66:67], s[18:19]
	v_add_f64 v[152:153], v[216:217], v[152:153]
	v_fma_f64 v[216:217], v[64:65], s[20:21], -v[66:67]
	v_fmac_f64_e32 v[66:67], s[20:21], v[64:65]
	v_add_f64 v[14:15], v[66:67], v[14:15]
	v_add_f64 v[66:67], v[160:161], -v[130:131]
	v_add_f64 v[178:179], v[216:217], v[178:179]
	v_add_f64 v[64:65], v[250:251], v[140:141]
	v_mul_f64 v[216:217], v[66:67], s[18:19]
	v_add_f64 v[162:163], v[218:219], v[162:163]
	v_fma_f64 v[218:219], v[64:65], s[20:21], -v[216:217]
	v_fmac_f64_e32 v[216:217], s[20:21], v[64:65]
	v_add_f64 v[68:69], v[216:217], v[68:69]
	v_mul_f64 v[216:217], v[66:67], s[34:35]
	v_add_f64 v[70:71], v[218:219], v[70:71]
	v_fma_f64 v[218:219], v[64:65], s[14:15], -v[216:217]
	v_fmac_f64_e32 v[216:217], s[14:15], v[64:65]
	;; [unrolled: 5-line block ×4, first 2 shown]
	v_mul_f64 v[66:67], v[66:67], s[30:31]
	v_add_f64 v[152:153], v[216:217], v[152:153]
	v_fma_f64 v[216:217], v[64:65], s[10:11], -v[66:67]
	v_fmac_f64_e32 v[66:67], s[10:11], v[64:65]
	v_add_f64 v[230:231], v[138:139], -v[156:157]
	v_add_f64 v[162:163], v[218:219], v[162:163]
	v_add_f64 v[178:179], v[216:217], v[178:179]
	;; [unrolled: 1-line block ×4, first 2 shown]
	v_mul_f64 v[14:15], v[230:231], s[22:23]
	v_fma_f64 v[64:65], v[218:219], s[24:25], -v[14:15]
	v_fmac_f64_e32 v[14:15], s[24:25], v[218:219]
	v_add_f64 v[14:15], v[14:15], v[68:69]
	v_mul_f64 v[68:69], v[230:231], s[28:29]
	v_fma_f64 v[66:67], v[218:219], s[4:5], -v[68:69]
	v_fmac_f64_e32 v[68:69], s[4:5], v[218:219]
	v_add_f64 v[68:69], v[68:69], v[72:73]
	v_mul_f64 v[72:73], v[230:231], s[18:19]
	v_add_f64 v[64:65], v[64:65], v[70:71]
	v_add_f64 v[66:67], v[66:67], v[74:75]
	v_fma_f64 v[70:71], v[218:219], s[20:21], -v[72:73]
	v_fmac_f64_e32 v[72:73], s[20:21], v[218:219]
	v_mul_f64 v[74:75], v[230:231], s[30:31]
	v_add_f64 v[70:71], v[70:71], v[146:147]
	v_add_f64 v[72:73], v[72:73], v[76:77]
	v_fma_f64 v[76:77], v[218:219], s[10:11], -v[74:75]
	v_fmac_f64_e32 v[74:75], s[10:11], v[218:219]
	v_mul_f64 v[146:147], v[230:231], s[12:13]
	v_add_f64 v[74:75], v[74:75], v[152:153]
	v_fma_f64 v[152:153], v[218:219], s[14:15], -v[146:147]
	v_fmac_f64_e32 v[146:147], s[14:15], v[218:219]
	v_add_f64 v[146:147], v[146:147], v[216:217]
	v_add_f64 v[216:217], v[166:167], -v[42:43]
	v_add_f64 v[152:153], v[152:153], v[178:179]
	v_add_f64 v[178:179], v[164:165], v[40:41]
	v_mul_f64 v[218:219], v[216:217], s[16:17]
	v_mul_f64 v[232:233], v[216:217], s[26:27]
	v_mul_f64 v[236:237], v[216:217], s[12:13]
	v_mul_f64 v[240:241], v[216:217], s[18:19]
	v_mul_f64 v[216:217], v[216:217], s[22:23]
	v_fma_f64 v[230:231], v[178:179], s[4:5], -v[218:219]
	v_fmac_f64_e32 v[218:219], s[4:5], v[178:179]
	v_fma_f64 v[234:235], v[178:179], s[10:11], -v[232:233]
	v_fmac_f64_e32 v[232:233], s[10:11], v[178:179]
	;; [unrolled: 2-line block ×5, first 2 shown]
	v_add_f64 v[76:77], v[76:77], v[162:163]
	v_add_f64 v[162:163], v[8:9], v[164:165]
	;; [unrolled: 1-line block ×12, first 2 shown]
	v_add_f64 v[216:217], v[102:103], -v[38:39]
	v_add_f64 v[178:179], v[98:99], v[36:37]
	v_mul_f64 v[246:247], v[216:217], s[26:27]
	v_fma_f64 v[248:249], v[178:179], s[10:11], -v[246:247]
	v_fmac_f64_e32 v[246:247], s[10:11], v[178:179]
	v_add_f64 v[218:219], v[246:247], v[218:219]
	v_mul_f64 v[246:247], v[216:217], s[18:19]
	v_add_f64 v[230:231], v[248:249], v[230:231]
	v_fma_f64 v[248:249], v[178:179], s[20:21], -v[246:247]
	v_fmac_f64_e32 v[246:247], s[20:21], v[178:179]
	v_add_f64 v[232:233], v[246:247], v[232:233]
	v_mul_f64 v[246:247], v[216:217], s[36:37]
	v_add_f64 v[234:235], v[248:249], v[234:235]
	v_fma_f64 v[248:249], v[178:179], s[24:25], -v[246:247]
	v_fmac_f64_e32 v[246:247], s[24:25], v[178:179]
	v_add_f64 v[236:237], v[246:247], v[236:237]
	v_mul_f64 v[246:247], v[216:217], s[34:35]
	v_add_f64 v[238:239], v[248:249], v[238:239]
	v_fma_f64 v[248:249], v[178:179], s[14:15], -v[246:247]
	v_fmac_f64_e32 v[246:247], s[14:15], v[178:179]
	v_mul_f64 v[216:217], v[216:217], s[28:29]
	v_add_f64 v[240:241], v[246:247], v[240:241]
	v_fma_f64 v[246:247], v[178:179], s[4:5], -v[216:217]
	v_fmac_f64_e32 v[216:217], s[4:5], v[178:179]
	v_add_f64 v[8:9], v[216:217], v[8:9]
	v_add_f64 v[216:217], v[86:87], -v[10:11]
	v_add_f64 v[244:245], v[246:247], v[244:245]
	v_add_f64 v[178:179], v[50:51], v[2:3]
	v_mul_f64 v[246:247], v[216:217], s[12:13]
	v_add_f64 v[242:243], v[248:249], v[242:243]
	v_fma_f64 v[248:249], v[178:179], s[14:15], -v[246:247]
	v_fmac_f64_e32 v[246:247], s[14:15], v[178:179]
	v_add_f64 v[218:219], v[246:247], v[218:219]
	v_mul_f64 v[246:247], v[216:217], s[36:37]
	v_add_f64 v[230:231], v[248:249], v[230:231]
	v_fma_f64 v[248:249], v[178:179], s[24:25], -v[246:247]
	v_fmac_f64_e32 v[246:247], s[24:25], v[178:179]
	v_add_f64 v[232:233], v[246:247], v[232:233]
	v_mul_f64 v[246:247], v[216:217], s[30:31]
	v_add_f64 v[234:235], v[248:249], v[234:235]
	v_fma_f64 v[248:249], v[178:179], s[10:11], -v[246:247]
	v_fmac_f64_e32 v[246:247], s[10:11], v[178:179]
	v_add_f64 v[236:237], v[246:247], v[236:237]
	v_mul_f64 v[246:247], v[216:217], s[16:17]
	v_add_f64 v[238:239], v[248:249], v[238:239]
	v_fma_f64 v[248:249], v[178:179], s[4:5], -v[246:247]
	v_fmac_f64_e32 v[246:247], s[4:5], v[178:179]
	v_mul_f64 v[216:217], v[216:217], s[18:19]
	v_add_f64 v[240:241], v[246:247], v[240:241]
	v_fma_f64 v[246:247], v[178:179], s[20:21], -v[216:217]
	v_fmac_f64_e32 v[216:217], s[20:21], v[178:179]
	v_add_f64 v[8:9], v[216:217], v[8:9]
	v_add_f64 v[216:217], v[142:143], -v[84:85]
	v_add_f64 v[244:245], v[246:247], v[244:245]
	v_add_f64 v[178:179], v[110:111], v[80:81]
	v_mul_f64 v[246:247], v[216:217], s[18:19]
	v_add_f64 v[242:243], v[248:249], v[242:243]
	;; [unrolled: 27-line block ×3, first 2 shown]
	v_fma_f64 v[248:249], v[178:179], s[24:25], -v[246:247]
	v_fmac_f64_e32 v[246:247], s[24:25], v[178:179]
	v_add_f64 v[246:247], v[246:247], v[218:219]
	v_mul_f64 v[218:219], v[216:217], s[28:29]
	v_add_f64 v[230:231], v[248:249], v[230:231]
	v_fma_f64 v[248:249], v[178:179], s[4:5], -v[218:219]
	v_fmac_f64_e32 v[218:219], s[4:5], v[178:179]
	v_add_f64 v[20:21], v[20:21], v[254:255]
	v_add_f64 v[232:233], v[218:219], v[232:233]
	v_mul_f64 v[218:219], v[216:217], s[18:19]
	v_add_f64 v[20:21], v[20:21], v[210:211]
	v_add_f64 v[234:235], v[248:249], v[234:235]
	v_fma_f64 v[248:249], v[178:179], s[20:21], -v[218:219]
	v_fmac_f64_e32 v[218:219], s[20:21], v[178:179]
	v_add_f64 v[20:21], v[20:21], v[158:159]
	v_add_f64 v[236:237], v[218:219], v[236:237]
	v_mul_f64 v[218:219], v[216:217], s[30:31]
	v_add_f64 v[20:21], v[20:21], v[198:199]
	v_add_f64 v[238:239], v[248:249], v[238:239]
	v_fma_f64 v[248:249], v[178:179], s[10:11], -v[218:219]
	v_fmac_f64_e32 v[218:219], s[10:11], v[178:179]
	v_mul_f64 v[216:217], v[216:217], s[12:13]
	v_add_f64 v[20:21], v[20:21], v[214:215]
	v_add_f64 v[240:241], v[218:219], v[240:241]
	v_fma_f64 v[218:219], v[178:179], s[14:15], -v[216:217]
	v_fmac_f64_e32 v[216:217], s[14:15], v[178:179]
	v_add_f64 v[20:21], v[20:21], v[206:207]
	v_add_f64 v[62:63], v[62:63], v[52:53]
	;; [unrolled: 1-line block ×4, first 2 shown]
	v_accvgpr_read_b32 v8, a2
	v_add_f64 v[20:21], v[20:21], v[190:191]
	v_add_f64 v[62:63], v[62:63], v[154:155]
	;; [unrolled: 1-line block ×3, first 2 shown]
	v_mul_u32_u24_e32 v9, 0x268, v8
	v_mov_b32_e32 v8, 3
	v_accvgpr_read_b32 v186, a3
	v_add_f64 v[20:21], v[20:21], v[132:133]
	v_add_f64 v[62:63], v[62:63], v[250:251]
	;; [unrolled: 1-line block ×3, first 2 shown]
	v_lshlrev_b32_sdwa v216, v8, v186 dst_sel:DWORD dst_unused:UNUSED_PAD src0_sel:DWORD src1_sel:BYTE_0
	v_add_f64 v[20:21], v[20:21], v[202:203]
	v_add_f64 v[62:63], v[62:63], v[150:151]
	;; [unrolled: 1-line block ×3, first 2 shown]
	v_add3_u32 v216, 0, v9, v216
	v_add_f64 v[62:63], v[62:63], v[182:183]
	v_add_f64 v[162:163], v[162:163], v[136:137]
	ds_write2_b64 v216, v[20:21], v[22:23] offset1:7
	ds_write2_b64 v216, v[24:25], v[28:29] offset0:14 offset1:21
	ds_write2_b64 v216, v[32:33], v[58:59] offset0:28 offset1:35
	;; [unrolled: 1-line block ×4, first 2 shown]
	ds_write_b64 v216, v[12:13] offset:560
	v_accvgpr_read_b32 v9, a4
	v_accvgpr_read_b32 v12, a5
	v_add_f64 v[62:63], v[62:63], v[140:141]
	v_add_f64 v[162:163], v[162:163], v[80:81]
	v_mul_u32_u24_e32 v9, 0x268, v9
	v_lshlrev_b32_sdwa v12, v8, v12 dst_sel:DWORD dst_unused:UNUSED_PAD src0_sel:DWORD src1_sel:BYTE_0
	v_add_f64 v[62:63], v[62:63], v[170:171]
	v_add_f64 v[162:163], v[162:163], v[2:3]
	v_add3_u32 v217, 0, v9, v12
	v_accvgpr_read_b32 v9, a26
	v_accvgpr_read_b32 v12, a27
	v_add_f64 v[62:63], v[62:63], v[78:79]
	v_add_f64 v[162:163], v[162:163], v[36:37]
	v_mul_u32_u24_e32 v9, 0x268, v9
	v_lshlrev_b32_sdwa v12, v8, v12 dst_sel:DWORD dst_unused:UNUSED_PAD src0_sel:DWORD src1_sel:BYTE_0
	v_add_f64 v[62:63], v[62:63], v[174:175]
	v_add_f64 v[162:163], v[162:163], v[40:41]
	;; [unrolled: 1-line block ×3, first 2 shown]
	v_add3_u32 v218, 0, v9, v12
	v_add_f64 v[242:243], v[248:249], v[242:243]
	ds_write2_b64 v217, v[62:63], v[64:65] offset1:7
	ds_write2_b64 v217, v[66:67], v[70:71] offset0:14 offset1:21
	ds_write2_b64 v217, v[76:77], v[152:153] offset0:28 offset1:35
	ds_write2_b64 v217, v[146:147], v[74:75] offset0:42 offset1:49
	ds_write2_b64 v217, v[72:73], v[68:69] offset0:56 offset1:63
	ds_write_b64 v217, v[14:15] offset:560
	ds_write2_b64 v218, v[162:163], v[230:231] offset1:7
	ds_write2_b64 v218, v[234:235], v[238:239] offset0:14 offset1:21
	ds_write2_b64 v218, v[242:243], v[244:245] offset0:28 offset1:35
	;; [unrolled: 1-line block ×4, first 2 shown]
	ds_write_b64 v218, v[246:247] offset:560
	s_and_saveexec_b64 s[38:39], s[0:1]
	s_cbranch_execz .LBB0_19
; %bb.18:
	v_add_f64 v[72:73], v[122:123], -v[126:127]
	v_add_f64 v[64:65], v[114:115], -v[116:117]
	v_add_f64 v[70:71], v[120:121], v[124:125]
	v_mul_f64 v[74:75], v[72:73], s[22:23]
	v_add_f64 v[34:35], v[96:97], -v[108:109]
	v_add_f64 v[62:63], v[112:113], v[56:57]
	v_mul_f64 v[66:67], v[64:65], s[28:29]
	v_fma_f64 v[76:77], s[24:25], v[70:71], v[74:75]
	v_add_f64 v[26:27], v[88:89], -v[92:93]
	v_add_f64 v[32:33], v[94:95], v[106:107]
	v_mul_f64 v[58:59], v[34:35], s[18:19]
	v_fma_f64 v[68:69], s[4:5], v[62:63], v[66:67]
	v_add_f64 v[76:77], v[228:229], v[76:77]
	v_add_f64 v[14:15], v[44:45], -v[48:49]
	v_add_f64 v[24:25], v[54:55], v[90:91]
	v_mul_f64 v[28:29], v[26:27], s[30:31]
	v_fma_f64 v[60:61], s[20:21], v[32:33], v[58:59]
	v_add_f64 v[68:69], v[68:69], v[76:77]
	v_add_f64 v[12:13], v[18:19], v[46:47]
	v_mul_f64 v[20:21], v[14:15], s[12:13]
	v_fma_f64 v[30:31], s[10:11], v[24:25], v[28:29]
	v_add_f64 v[60:61], v[60:61], v[68:69]
	v_fma_f64 v[22:23], s[14:15], v[12:13], v[20:21]
	v_add_f64 v[30:31], v[30:31], v[60:61]
	v_fma_f64 v[60:61], v[70:71], s[24:25], -v[74:75]
	v_add_f64 v[22:23], v[22:23], v[30:31]
	v_fma_f64 v[30:31], v[32:33], s[20:21], -v[58:59]
	v_fma_f64 v[58:59], v[62:63], s[4:5], -v[66:67]
	v_add_f64 v[60:61], v[228:229], v[60:61]
	v_mul_f64 v[146:147], v[72:73], s[18:19]
	v_add_f64 v[58:59], v[58:59], v[60:61]
	v_mul_f64 v[74:75], v[64:65], s[34:35]
	v_fma_f64 v[152:153], s[20:21], v[70:71], v[146:147]
	v_fma_f64 v[28:29], v[24:25], s[10:11], -v[28:29]
	v_add_f64 v[30:31], v[30:31], v[58:59]
	v_mul_f64 v[66:67], v[34:35], s[16:17]
	v_fma_f64 v[76:77], s[14:15], v[62:63], v[74:75]
	v_add_f64 v[152:153], v[228:229], v[152:153]
	v_fma_f64 v[20:21], v[12:13], s[14:15], -v[20:21]
	v_add_f64 v[28:29], v[28:29], v[30:31]
	v_mul_f64 v[58:59], v[26:27], s[22:23]
	v_fma_f64 v[68:69], s[4:5], v[32:33], v[66:67]
	v_add_f64 v[76:77], v[76:77], v[152:153]
	v_add_f64 v[20:21], v[20:21], v[28:29]
	v_mul_f64 v[28:29], v[14:15], s[30:31]
	v_fma_f64 v[60:61], s[24:25], v[24:25], v[58:59]
	v_add_f64 v[68:69], v[68:69], v[76:77]
	v_fma_f64 v[30:31], s[10:11], v[12:13], v[28:29]
	v_add_f64 v[60:61], v[60:61], v[68:69]
	v_fma_f64 v[68:69], v[70:71], s[20:21], -v[146:147]
	v_add_f64 v[30:31], v[30:31], v[60:61]
	v_fma_f64 v[60:61], v[32:33], s[4:5], -v[66:67]
	v_fma_f64 v[66:67], v[62:63], s[14:15], -v[74:75]
	v_add_f64 v[68:69], v[228:229], v[68:69]
	v_mul_f64 v[162:163], v[72:73], s[12:13]
	v_add_f64 v[66:67], v[66:67], v[68:69]
	v_mul_f64 v[146:147], v[64:65], s[36:37]
	v_fma_f64 v[178:179], s[14:15], v[70:71], v[162:163]
	v_fma_f64 v[58:59], v[24:25], s[24:25], -v[58:59]
	v_add_f64 v[60:61], v[60:61], v[66:67]
	v_mul_f64 v[74:75], v[34:35], s[30:31]
	v_fma_f64 v[152:153], s[24:25], v[62:63], v[146:147]
	v_add_f64 v[178:179], v[228:229], v[178:179]
	v_fma_f64 v[28:29], v[12:13], s[10:11], -v[28:29]
	;; [unrolled: 25-line block ×3, first 2 shown]
	v_add_f64 v[66:67], v[66:67], v[68:69]
	v_mul_f64 v[74:75], v[26:27], s[34:35]
	v_fma_f64 v[152:153], s[24:25], v[32:33], v[146:147]
	v_add_f64 v[178:179], v[178:179], v[232:233]
	v_add_f64 v[58:59], v[58:59], v[66:67]
	v_mul_f64 v[66:67], v[14:15], s[28:29]
	v_fma_f64 v[76:77], s[14:15], v[24:25], v[74:75]
	v_add_f64 v[152:153], v[152:153], v[178:179]
	v_fma_f64 v[68:69], s[4:5], v[12:13], v[66:67]
	v_add_f64 v[76:77], v[76:77], v[152:153]
	v_fma_f64 v[152:153], v[70:71], s[10:11], -v[230:231]
	v_add_f64 v[68:69], v[68:69], v[76:77]
	v_fma_f64 v[76:77], v[32:33], s[24:25], -v[146:147]
	v_fma_f64 v[146:147], v[62:63], s[20:21], -v[162:163]
	v_add_f64 v[152:153], v[228:229], v[152:153]
	v_add_f64 v[146:147], v[146:147], v[152:153]
	v_fma_f64 v[74:75], v[24:25], s[14:15], -v[74:75]
	v_add_f64 v[76:77], v[76:77], v[146:147]
	v_fma_f64 v[66:67], v[12:13], s[4:5], -v[66:67]
	v_add_f64 v[74:75], v[74:75], v[76:77]
	v_mul_f64 v[14:15], v[14:15], s[22:23]
	v_mul_f64 v[26:27], v[26:27], s[18:19]
	;; [unrolled: 1-line block ×4, first 2 shown]
	v_add_f64 v[66:67], v[66:67], v[74:75]
	v_fma_f64 v[74:75], s[24:25], v[12:13], v[14:15]
	v_fma_f64 v[76:77], s[20:21], v[24:25], v[26:27]
	;; [unrolled: 1-line block ×3, first 2 shown]
	v_mul_f64 v[64:65], v[64:65], s[26:27]
	v_fma_f64 v[12:13], v[12:13], s[24:25], -v[14:15]
	v_fma_f64 v[14:15], v[24:25], s[20:21], -v[26:27]
	;; [unrolled: 1-line block ×5, first 2 shown]
	v_add_f64 v[32:33], v[228:229], v[32:33]
	v_add_f64 v[26:27], v[26:27], v[32:33]
	;; [unrolled: 1-line block ×10, first 2 shown]
	v_fma_f64 v[162:163], s[4:5], v[70:71], v[72:73]
	v_add_f64 v[14:15], v[14:15], v[46:47]
	v_fma_f64 v[152:153], s[10:11], v[62:63], v[64:65]
	v_add_f64 v[162:163], v[228:229], v[162:163]
	v_add_f64 v[14:15], v[14:15], v[90:91]
	;; [unrolled: 1-line block ×6, first 2 shown]
	v_mul_u32_u24_e32 v9, 0x268, v221
	v_lshlrev_b32_sdwa v8, v8, v222 dst_sel:DWORD dst_unused:UNUSED_PAD src0_sel:DWORD src1_sel:BYTE_0
	v_add_f64 v[76:77], v[76:77], v[146:147]
	v_add_f64 v[14:15], v[14:15], v[124:125]
	v_add3_u32 v8, 0, v9, v8
	v_add_f64 v[74:75], v[74:75], v[76:77]
	ds_write2_b64 v8, v[14:15], v[12:13] offset1:7
	ds_write2_b64 v8, v[66:67], v[58:59] offset0:14 offset1:21
	ds_write2_b64 v8, v[28:29], v[20:21] offset0:28 offset1:35
	;; [unrolled: 1-line block ×4, first 2 shown]
	ds_write_b64 v8, v[74:75] offset:560
.LBB0_19:
	s_or_b64 exec, exec, s[38:39]
	v_add_f64 v[8:9], v[4:5], v[134:135]
	v_add_f64 v[8:9], v[8:9], v[188:189]
	;; [unrolled: 1-line block ×9, first 2 shown]
	v_add_f64 v[12:13], v[128:129], -v[202:203]
	v_add_f64 v[146:147], v[8:9], v[204:205]
	v_add_f64 v[8:9], v[134:135], v[204:205]
	v_mul_f64 v[14:15], v[12:13], s[16:17]
	v_mul_f64 v[22:23], v[12:13], s[26:27]
	;; [unrolled: 1-line block ×5, first 2 shown]
	v_fma_f64 v[20:21], s[4:5], v[8:9], v[14:15]
	v_fma_f64 v[14:15], v[8:9], s[4:5], -v[14:15]
	v_fma_f64 v[24:25], s[10:11], v[8:9], v[22:23]
	v_fma_f64 v[22:23], v[8:9], s[10:11], -v[22:23]
	;; [unrolled: 2-line block ×5, first 2 shown]
	v_add_f64 v[12:13], v[254:255], -v[132:133]
	v_add_f64 v[20:21], v[4:5], v[20:21]
	v_add_f64 v[14:15], v[4:5], v[14:15]
	;; [unrolled: 1-line block ×11, first 2 shown]
	v_mul_f64 v[58:59], v[12:13], s[26:27]
	v_fma_f64 v[60:61], s[10:11], v[8:9], v[58:59]
	v_fma_f64 v[58:59], v[8:9], s[10:11], -v[58:59]
	v_add_f64 v[14:15], v[58:59], v[14:15]
	v_mul_f64 v[58:59], v[12:13], s[18:19]
	v_add_f64 v[20:21], v[60:61], v[20:21]
	v_fma_f64 v[60:61], s[20:21], v[8:9], v[58:59]
	v_fma_f64 v[58:59], v[8:9], s[20:21], -v[58:59]
	v_add_f64 v[22:23], v[58:59], v[22:23]
	v_mul_f64 v[58:59], v[12:13], s[36:37]
	v_add_f64 v[24:25], v[60:61], v[24:25]
	v_fma_f64 v[60:61], s[24:25], v[8:9], v[58:59]
	v_fma_f64 v[58:59], v[8:9], s[24:25], -v[58:59]
	v_add_f64 v[26:27], v[58:59], v[26:27]
	v_mul_f64 v[58:59], v[12:13], s[34:35]
	v_add_f64 v[28:29], v[60:61], v[28:29]
	v_fma_f64 v[60:61], s[14:15], v[8:9], v[58:59]
	v_fma_f64 v[58:59], v[8:9], s[14:15], -v[58:59]
	v_mul_f64 v[12:13], v[12:13], s[28:29]
	v_add_f64 v[30:31], v[58:59], v[30:31]
	v_fma_f64 v[58:59], s[4:5], v[8:9], v[12:13]
	v_fma_f64 v[8:9], v[8:9], s[4:5], -v[12:13]
	v_add_f64 v[12:13], v[210:211], -v[190:191]
	v_add_f64 v[34:35], v[58:59], v[34:35]
	v_add_f64 v[4:5], v[8:9], v[4:5]
	v_add_f64 v[8:9], v[212:213], v[192:193]
	v_mul_f64 v[58:59], v[12:13], s[12:13]
	v_add_f64 v[32:33], v[60:61], v[32:33]
	v_fma_f64 v[60:61], s[14:15], v[8:9], v[58:59]
	v_fma_f64 v[58:59], v[8:9], s[14:15], -v[58:59]
	v_add_f64 v[14:15], v[58:59], v[14:15]
	v_mul_f64 v[58:59], v[12:13], s[36:37]
	v_add_f64 v[20:21], v[60:61], v[20:21]
	v_fma_f64 v[60:61], s[24:25], v[8:9], v[58:59]
	v_fma_f64 v[58:59], v[8:9], s[24:25], -v[58:59]
	v_add_f64 v[22:23], v[58:59], v[22:23]
	v_mul_f64 v[58:59], v[12:13], s[30:31]
	v_add_f64 v[24:25], v[60:61], v[24:25]
	v_fma_f64 v[60:61], s[10:11], v[8:9], v[58:59]
	v_fma_f64 v[58:59], v[8:9], s[10:11], -v[58:59]
	v_add_f64 v[26:27], v[58:59], v[26:27]
	v_mul_f64 v[58:59], v[12:13], s[16:17]
	v_add_f64 v[28:29], v[60:61], v[28:29]
	v_fma_f64 v[60:61], s[4:5], v[8:9], v[58:59]
	v_fma_f64 v[58:59], v[8:9], s[4:5], -v[58:59]
	v_mul_f64 v[12:13], v[12:13], s[18:19]
	v_add_f64 v[30:31], v[58:59], v[30:31]
	v_fma_f64 v[58:59], s[20:21], v[8:9], v[12:13]
	v_fma_f64 v[8:9], v[8:9], s[20:21], -v[12:13]
	v_add_f64 v[12:13], v[158:159], -v[206:207]
	v_add_f64 v[34:35], v[58:59], v[34:35]
	v_add_f64 v[4:5], v[8:9], v[4:5]
	v_add_f64 v[8:9], v[180:181], v[208:209]
	v_mul_f64 v[58:59], v[12:13], s[18:19]
	v_add_f64 v[32:33], v[60:61], v[32:33]
	;; [unrolled: 27-line block ×3, first 2 shown]
	v_fma_f64 v[60:61], s[24:25], v[8:9], v[58:59]
	v_add_f64 v[132:133], v[60:61], v[20:21]
	v_fma_f64 v[20:21], v[8:9], s[24:25], -v[58:59]
	v_add_f64 v[128:129], v[20:21], v[14:15]
	v_mul_f64 v[14:15], v[12:13], s[28:29]
	v_fma_f64 v[20:21], s[4:5], v[8:9], v[14:15]
	v_fma_f64 v[14:15], v[8:9], s[4:5], -v[14:15]
	v_add_f64 v[134:135], v[14:15], v[22:23]
	v_mul_f64 v[14:15], v[12:13], s[18:19]
	v_add_f64 v[144:145], v[20:21], v[24:25]
	v_fma_f64 v[20:21], s[20:21], v[8:9], v[14:15]
	v_fma_f64 v[14:15], v[8:9], s[20:21], -v[14:15]
	v_add_f64 v[152:153], v[14:15], v[26:27]
	v_mul_f64 v[14:15], v[12:13], s[30:31]
	v_add_f64 v[178:179], v[20:21], v[28:29]
	v_fma_f64 v[20:21], s[10:11], v[8:9], v[14:15]
	v_fma_f64 v[14:15], v[8:9], s[10:11], -v[14:15]
	v_mul_f64 v[12:13], v[12:13], s[12:13]
	v_add_f64 v[180:181], v[20:21], v[32:33]
	v_add_f64 v[20:21], v[14:15], v[30:31]
	v_fma_f64 v[14:15], s[14:15], v[8:9], v[12:13]
	v_fma_f64 v[8:9], v[8:9], s[14:15], -v[12:13]
	v_add_f64 v[158:159], v[8:9], v[4:5]
	v_add_f64 v[4:5], v[6:7], v[196:197]
	;; [unrolled: 1-line block ×10, first 2 shown]
	v_add_f64 v[8:9], v[194:195], -v[174:175]
	v_add_f64 v[162:163], v[4:5], v[176:177]
	v_add_f64 v[4:5], v[196:197], v[176:177]
	v_mul_f64 v[12:13], v[8:9], s[16:17]
	v_mul_f64 v[24:25], v[8:9], s[26:27]
	v_mul_f64 v[28:29], v[8:9], s[12:13]
	v_mul_f64 v[32:33], v[8:9], s[18:19]
	v_mul_f64 v[8:9], v[8:9], s[22:23]
	v_add_f64 v[22:23], v[14:15], v[34:35]
	v_fma_f64 v[14:15], s[4:5], v[4:5], v[12:13]
	v_fma_f64 v[12:13], v[4:5], s[4:5], -v[12:13]
	v_fma_f64 v[26:27], s[10:11], v[4:5], v[24:25]
	v_fma_f64 v[24:25], v[4:5], s[10:11], -v[24:25]
	;; [unrolled: 2-line block ×5, first 2 shown]
	v_add_f64 v[8:9], v[52:53], -v[78:79]
	v_add_f64 v[14:15], v[6:7], v[14:15]
	v_add_f64 v[12:13], v[6:7], v[12:13]
	;; [unrolled: 1-line block ×11, first 2 shown]
	v_mul_f64 v[52:53], v[8:9], s[26:27]
	v_fma_f64 v[60:61], s[10:11], v[6:7], v[52:53]
	v_fma_f64 v[52:53], v[6:7], s[10:11], -v[52:53]
	v_add_f64 v[12:13], v[52:53], v[12:13]
	v_mul_f64 v[52:53], v[8:9], s[18:19]
	v_add_f64 v[14:15], v[60:61], v[14:15]
	v_fma_f64 v[60:61], s[20:21], v[6:7], v[52:53]
	v_fma_f64 v[52:53], v[6:7], s[20:21], -v[52:53]
	v_add_f64 v[24:25], v[52:53], v[24:25]
	v_mul_f64 v[52:53], v[8:9], s[36:37]
	v_add_f64 v[26:27], v[60:61], v[26:27]
	v_fma_f64 v[60:61], s[24:25], v[6:7], v[52:53]
	v_fma_f64 v[52:53], v[6:7], s[24:25], -v[52:53]
	v_add_f64 v[28:29], v[52:53], v[28:29]
	v_mul_f64 v[52:53], v[8:9], s[34:35]
	v_add_f64 v[30:31], v[60:61], v[30:31]
	v_fma_f64 v[60:61], s[14:15], v[6:7], v[52:53]
	v_fma_f64 v[52:53], v[6:7], s[14:15], -v[52:53]
	v_mul_f64 v[8:9], v[8:9], s[28:29]
	v_add_f64 v[32:33], v[52:53], v[32:33]
	v_fma_f64 v[52:53], s[4:5], v[6:7], v[8:9]
	v_fma_f64 v[6:7], v[6:7], s[4:5], -v[8:9]
	v_add_f64 v[8:9], v[154:155], -v[170:171]
	v_add_f64 v[52:53], v[52:53], v[58:59]
	v_add_f64 v[4:5], v[6:7], v[4:5]
	v_add_f64 v[6:7], v[148:149], v[172:173]
	v_mul_f64 v[58:59], v[8:9], s[12:13]
	v_add_f64 v[34:35], v[60:61], v[34:35]
	v_fma_f64 v[60:61], s[14:15], v[6:7], v[58:59]
	v_fma_f64 v[58:59], v[6:7], s[14:15], -v[58:59]
	v_add_f64 v[12:13], v[58:59], v[12:13]
	v_mul_f64 v[58:59], v[8:9], s[36:37]
	v_add_f64 v[14:15], v[60:61], v[14:15]
	v_fma_f64 v[60:61], s[24:25], v[6:7], v[58:59]
	v_fma_f64 v[58:59], v[6:7], s[24:25], -v[58:59]
	v_add_f64 v[24:25], v[58:59], v[24:25]
	v_mul_f64 v[58:59], v[8:9], s[30:31]
	v_add_f64 v[26:27], v[60:61], v[26:27]
	v_fma_f64 v[60:61], s[10:11], v[6:7], v[58:59]
	v_fma_f64 v[58:59], v[6:7], s[10:11], -v[58:59]
	v_add_f64 v[28:29], v[58:59], v[28:29]
	v_mul_f64 v[58:59], v[8:9], s[16:17]
	v_add_f64 v[30:31], v[60:61], v[30:31]
	v_fma_f64 v[60:61], s[4:5], v[6:7], v[58:59]
	v_fma_f64 v[58:59], v[6:7], s[4:5], -v[58:59]
	v_mul_f64 v[8:9], v[8:9], s[18:19]
	v_add_f64 v[32:33], v[58:59], v[32:33]
	v_fma_f64 v[58:59], s[20:21], v[6:7], v[8:9]
	v_fma_f64 v[6:7], v[6:7], s[20:21], -v[8:9]
	v_add_f64 v[8:9], v[250:251], -v[140:141]
	v_add_f64 v[52:53], v[58:59], v[52:53]
	v_add_f64 v[4:5], v[6:7], v[4:5]
	v_add_f64 v[6:7], v[160:161], v[130:131]
	v_mul_f64 v[58:59], v[8:9], s[18:19]
	v_add_f64 v[34:35], v[60:61], v[34:35]
	;; [unrolled: 27-line block ×3, first 2 shown]
	v_fma_f64 v[60:61], s[24:25], v[6:7], v[58:59]
	v_add_f64 v[130:131], v[60:61], v[14:15]
	v_fma_f64 v[14:15], v[6:7], s[24:25], -v[58:59]
	v_add_f64 v[138:139], v[14:15], v[12:13]
	v_mul_f64 v[12:13], v[8:9], s[28:29]
	v_fma_f64 v[14:15], s[4:5], v[6:7], v[12:13]
	v_fma_f64 v[12:13], v[6:7], s[4:5], -v[12:13]
	v_add_f64 v[148:149], v[12:13], v[24:25]
	v_mul_f64 v[12:13], v[8:9], s[18:19]
	v_add_f64 v[140:141], v[14:15], v[26:27]
	v_fma_f64 v[14:15], s[20:21], v[6:7], v[12:13]
	v_fma_f64 v[12:13], v[6:7], s[20:21], -v[12:13]
	v_add_f64 v[154:155], v[12:13], v[28:29]
	v_mul_f64 v[12:13], v[8:9], s[30:31]
	v_add_f64 v[150:151], v[14:15], v[30:31]
	v_fma_f64 v[14:15], s[10:11], v[6:7], v[12:13]
	v_fma_f64 v[12:13], v[6:7], s[10:11], -v[12:13]
	v_mul_f64 v[8:9], v[8:9], s[12:13]
	v_add_f64 v[160:161], v[12:13], v[32:33]
	v_fma_f64 v[12:13], s[14:15], v[6:7], v[8:9]
	v_fma_f64 v[6:7], v[6:7], s[14:15], -v[8:9]
	v_add_f64 v[168:169], v[6:7], v[4:5]
	v_add_f64 v[4:5], v[0:1], v[166:167]
	;; [unrolled: 1-line block ×10, first 2 shown]
	v_add_f64 v[6:7], v[164:165], -v[40:41]
	v_add_f64 v[156:157], v[14:15], v[34:35]
	v_add_f64 v[170:171], v[4:5], v[42:43]
	;; [unrolled: 1-line block ×3, first 2 shown]
	v_mul_f64 v[8:9], v[6:7], s[16:17]
	v_mul_f64 v[14:15], v[6:7], s[26:27]
	;; [unrolled: 1-line block ×5, first 2 shown]
	v_add_f64 v[52:53], v[12:13], v[52:53]
	v_fma_f64 v[12:13], s[4:5], v[4:5], v[8:9]
	v_fma_f64 v[8:9], v[4:5], s[4:5], -v[8:9]
	v_fma_f64 v[24:25], s[10:11], v[4:5], v[14:15]
	v_fma_f64 v[14:15], v[4:5], s[10:11], -v[14:15]
	v_fma_f64 v[28:29], s[14:15], v[4:5], v[26:27]
	v_fma_f64 v[26:27], v[4:5], s[14:15], -v[26:27]
	v_fma_f64 v[32:33], s[20:21], v[4:5], v[30:31]
	v_fma_f64 v[30:31], v[4:5], s[20:21], -v[30:31]
	v_fma_f64 v[34:35], s[24:25], v[4:5], v[6:7]
	v_fma_f64 v[4:5], v[4:5], s[24:25], -v[6:7]
	v_add_f64 v[6:7], v[98:99], -v[36:37]
	v_add_f64 v[12:13], v[0:1], v[12:13]
	v_add_f64 v[8:9], v[0:1], v[8:9]
	;; [unrolled: 1-line block ×11, first 2 shown]
	v_mul_f64 v[36:37], v[6:7], s[26:27]
	v_fma_f64 v[38:39], s[10:11], v[4:5], v[36:37]
	v_fma_f64 v[36:37], v[4:5], s[10:11], -v[36:37]
	v_add_f64 v[8:9], v[36:37], v[8:9]
	v_mul_f64 v[36:37], v[6:7], s[18:19]
	v_add_f64 v[12:13], v[38:39], v[12:13]
	v_fma_f64 v[38:39], s[20:21], v[4:5], v[36:37]
	v_fma_f64 v[36:37], v[4:5], s[20:21], -v[36:37]
	v_add_f64 v[14:15], v[36:37], v[14:15]
	v_mul_f64 v[36:37], v[6:7], s[36:37]
	v_add_f64 v[24:25], v[38:39], v[24:25]
	;; [unrolled: 5-line block ×3, first 2 shown]
	v_fma_f64 v[38:39], s[14:15], v[4:5], v[36:37]
	v_fma_f64 v[36:37], v[4:5], s[14:15], -v[36:37]
	v_mul_f64 v[6:7], v[6:7], s[28:29]
	v_add_f64 v[30:31], v[36:37], v[30:31]
	v_fma_f64 v[36:37], s[4:5], v[4:5], v[6:7]
	v_fma_f64 v[4:5], v[4:5], s[4:5], -v[6:7]
	v_add_f64 v[2:3], v[50:51], -v[2:3]
	v_add_f64 v[0:1], v[4:5], v[0:1]
	v_add_f64 v[4:5], v[86:87], v[10:11]
	v_mul_f64 v[6:7], v[2:3], s[12:13]
	v_fma_f64 v[10:11], s[14:15], v[4:5], v[6:7]
	v_fma_f64 v[6:7], v[4:5], s[14:15], -v[6:7]
	v_add_f64 v[6:7], v[6:7], v[8:9]
	v_mul_f64 v[8:9], v[2:3], s[36:37]
	v_add_f64 v[10:11], v[10:11], v[12:13]
	v_fma_f64 v[12:13], s[24:25], v[4:5], v[8:9]
	v_fma_f64 v[8:9], v[4:5], s[24:25], -v[8:9]
	v_add_f64 v[8:9], v[8:9], v[14:15]
	v_mul_f64 v[14:15], v[2:3], s[30:31]
	v_add_f64 v[12:13], v[12:13], v[24:25]
	;; [unrolled: 5-line block ×3, first 2 shown]
	v_fma_f64 v[28:29], s[4:5], v[4:5], v[26:27]
	v_fma_f64 v[26:27], v[4:5], s[4:5], -v[26:27]
	v_mul_f64 v[2:3], v[2:3], s[18:19]
	v_add_f64 v[32:33], v[38:39], v[32:33]
	v_add_f64 v[26:27], v[26:27], v[30:31]
	v_fma_f64 v[30:31], s[20:21], v[4:5], v[2:3]
	v_fma_f64 v[2:3], v[4:5], s[20:21], -v[2:3]
	v_add_f64 v[4:5], v[110:111], -v[80:81]
	v_add_f64 v[34:35], v[36:37], v[34:35]
	v_add_f64 v[28:29], v[28:29], v[32:33]
	v_add_f64 v[0:1], v[2:3], v[0:1]
	v_add_f64 v[2:3], v[142:143], v[84:85]
	v_mul_f64 v[32:33], v[4:5], s[18:19]
	v_add_f64 v[30:31], v[30:31], v[34:35]
	v_fma_f64 v[34:35], s[20:21], v[2:3], v[32:33]
	v_fma_f64 v[32:33], v[2:3], s[20:21], -v[32:33]
	v_add_f64 v[6:7], v[32:33], v[6:7]
	v_mul_f64 v[32:33], v[4:5], s[34:35]
	v_add_f64 v[10:11], v[34:35], v[10:11]
	v_fma_f64 v[34:35], s[14:15], v[2:3], v[32:33]
	v_fma_f64 v[32:33], v[2:3], s[14:15], -v[32:33]
	v_add_f64 v[8:9], v[32:33], v[8:9]
	;; [unrolled: 5-line block ×3, first 2 shown]
	v_mul_f64 v[32:33], v[4:5], s[22:23]
	v_add_f64 v[24:25], v[34:35], v[24:25]
	v_fma_f64 v[34:35], s[24:25], v[2:3], v[32:33]
	v_fma_f64 v[32:33], v[2:3], s[24:25], -v[32:33]
	v_mul_f64 v[4:5], v[4:5], s[30:31]
	v_add_f64 v[26:27], v[32:33], v[26:27]
	v_fma_f64 v[32:33], s[10:11], v[2:3], v[4:5]
	v_fma_f64 v[2:3], v[2:3], s[10:11], -v[4:5]
	v_add_f64 v[4:5], v[100:101], -v[136:137]
	v_add_f64 v[30:31], v[32:33], v[30:31]
	v_add_f64 v[0:1], v[2:3], v[0:1]
	;; [unrolled: 1-line block ×3, first 2 shown]
	v_mul_f64 v[32:33], v[4:5], s[22:23]
	v_add_f64 v[28:29], v[34:35], v[28:29]
	v_fma_f64 v[34:35], s[24:25], v[2:3], v[32:33]
	v_add_f64 v[50:51], v[34:35], v[10:11]
	v_fma_f64 v[10:11], v[2:3], s[24:25], -v[32:33]
	v_add_f64 v[86:87], v[10:11], v[6:7]
	v_mul_f64 v[6:7], v[4:5], s[28:29]
	v_fma_f64 v[10:11], s[4:5], v[2:3], v[6:7]
	v_fma_f64 v[6:7], v[2:3], s[4:5], -v[6:7]
	v_add_f64 v[100:101], v[6:7], v[8:9]
	v_mul_f64 v[6:7], v[4:5], s[18:19]
	v_fma_f64 v[8:9], s[20:21], v[2:3], v[6:7]
	v_fma_f64 v[6:7], v[2:3], s[20:21], -v[6:7]
	v_add_f64 v[104:105], v[6:7], v[14:15]
	v_mul_f64 v[6:7], v[4:5], s[30:31]
	v_add_f64 v[102:103], v[8:9], v[24:25]
	v_fma_f64 v[8:9], s[10:11], v[2:3], v[6:7]
	v_fma_f64 v[6:7], v[2:3], s[10:11], -v[6:7]
	v_mul_f64 v[4:5], v[4:5], s[12:13]
	v_accvgpr_read_b32 v172, a28            ;  Reload Reuse
	v_add_f64 v[118:119], v[6:7], v[26:27]
	v_fma_f64 v[6:7], s[14:15], v[2:3], v[4:5]
	v_fma_f64 v[2:3], v[2:3], s[14:15], -v[4:5]
	v_add_u32_e32 v173, 0x800, v172
	v_add_u32_e32 v195, 0x1800, v172
	v_add_u32_e32 v176, 0x2000, v172
	v_add_u32_e32 v174, 0x3000, v172
	v_add_f64 v[98:99], v[10:11], v[12:13]
	v_add_f64 v[110:111], v[8:9], v[28:29]
	;; [unrolled: 1-line block ×3, first 2 shown]
	s_waitcnt lgkmcnt(0)
	; wave barrier
	s_waitcnt lgkmcnt(0)
	ds_read2_b64 v[12:15], v172 offset1:55
	ds_read2_b64 v[0:3], v173 offset0:74 offset1:129
	ds_read2_b64 v[82:85], v195 offset0:2 offset1:57
	;; [unrolled: 1-line block ×9, first 2 shown]
	v_add_u32_e32 v175, 0x1000, v172
	v_add_u32_e32 v177, 0x2800, v172
	;; [unrolled: 1-line block ×5, first 2 shown]
	v_add_f64 v[136:137], v[6:7], v[30:31]
	ds_read2_b64 v[58:61], v175 offset0:38 offset1:93
	ds_read2_b64 v[40:43], v177 offset0:40 offset1:95
	;; [unrolled: 1-line block ×7, first 2 shown]
	ds_read_b64 a[12:13], v172 offset:14960
	s_waitcnt lgkmcnt(0)
	; wave barrier
	s_waitcnt lgkmcnt(0)
	ds_write2_b64 v216, v[146:147], v[132:133] offset1:7
	ds_write2_b64 v216, v[144:145], v[178:179] offset0:14 offset1:21
	ds_write2_b64 v216, v[180:181], v[22:23] offset0:28 offset1:35
	ds_write2_b64 v216, v[158:159], v[20:21] offset0:42 offset1:49
	ds_write2_b64 v216, v[152:153], v[134:135] offset0:56 offset1:63
	ds_write_b64 v216, v[128:129] offset:560
	ds_write2_b64 v217, v[162:163], v[130:131] offset1:7
	ds_write2_b64 v217, v[140:141], v[150:151] offset0:14 offset1:21
	ds_write2_b64 v217, v[156:157], v[52:53] offset0:28 offset1:35
	ds_write2_b64 v217, v[168:169], v[160:161] offset0:42 offset1:49
	ds_write2_b64 v217, v[154:155], v[148:149] offset0:56 offset1:63
	ds_write_b64 v217, v[138:139] offset:560
	;; [unrolled: 6-line block ×3, first 2 shown]
	s_and_saveexec_b64 s[4:5], s[0:1]
	s_cbranch_execz .LBB0_21
; %bb.20:
	s_mov_b32 s18, 0xf8bb580b
	s_mov_b32 s14, 0x43842ef
	;; [unrolled: 1-line block ×4, first 2 shown]
	v_add_f64 v[50:51], v[120:121], -v[124:125]
	s_mov_b32 s19, 0xbfe14ced
	s_mov_b32 s0, 0x8764f0ba
	;; [unrolled: 1-line block ×11, first 2 shown]
	v_add_f64 v[22:23], v[122:123], v[126:127]
	v_mul_f64 v[52:53], v[50:51], s[18:19]
	s_mov_b32 s1, 0x3feaeb8c
	v_mul_f64 v[98:99], v[50:51], s[10:11]
	s_mov_b32 s13, 0x3fda9628
	;; [unrolled: 2-line block ×5, first 2 shown]
	v_fma_f64 v[86:87], s[0:1], v[22:23], v[52:53]
	v_fma_f64 v[52:53], v[22:23], s[0:1], -v[52:53]
	v_fma_f64 v[100:101], s[12:13], v[22:23], v[98:99]
	v_fma_f64 v[98:99], v[22:23], s[12:13], -v[98:99]
	;; [unrolled: 2-line block ×5, first 2 shown]
	v_add_f64 v[50:51], v[112:113], -v[56:57]
	v_add_f64 v[20:21], v[16:17], v[122:123]
	v_add_f64 v[86:87], v[16:17], v[86:87]
	;; [unrolled: 1-line block ×12, first 2 shown]
	v_mul_f64 v[56:57], v[50:51], s[10:11]
	v_fma_f64 v[112:113], s[12:13], v[22:23], v[56:57]
	v_fma_f64 v[56:57], v[22:23], s[12:13], -v[56:57]
	v_add_f64 v[52:53], v[56:57], v[52:53]
	v_mul_f64 v[56:57], v[50:51], s[20:21]
	v_add_f64 v[86:87], v[112:113], v[86:87]
	v_fma_f64 v[112:113], s[22:23], v[22:23], v[56:57]
	v_fma_f64 v[56:57], v[22:23], s[22:23], -v[56:57]
	s_mov_b32 s29, 0x3fd207e7
	s_mov_b32 s28, s24
	v_add_f64 v[56:57], v[56:57], v[98:99]
	v_mul_f64 v[98:99], v[50:51], s[28:29]
	v_add_f64 v[100:101], v[112:113], v[100:101]
	v_fma_f64 v[112:113], s[26:27], v[22:23], v[98:99]
	v_fma_f64 v[98:99], v[22:23], s[26:27], -v[98:99]
	s_mov_b32 s31, 0x3fefac9e
	s_mov_b32 s30, s14
	v_add_f64 v[98:99], v[98:99], v[102:103]
	v_mul_f64 v[102:103], v[50:51], s[30:31]
	s_mov_b32 s35, 0x3fe14ced
	s_mov_b32 s34, s18
	v_add_f64 v[104:105], v[112:113], v[104:105]
	v_fma_f64 v[112:113], s[16:17], v[22:23], v[102:103]
	v_fma_f64 v[102:103], v[22:23], s[16:17], -v[102:103]
	v_mul_f64 v[50:51], v[50:51], s[34:35]
	v_add_f64 v[102:103], v[102:103], v[110:111]
	v_fma_f64 v[110:111], s[0:1], v[22:23], v[50:51]
	v_fma_f64 v[22:23], v[22:23], s[0:1], -v[50:51]
	v_add_f64 v[50:51], v[94:95], -v[106:107]
	v_add_f64 v[20:21], v[20:21], v[114:115]
	v_add_f64 v[16:17], v[22:23], v[16:17]
	v_add_f64 v[22:23], v[96:97], v[108:109]
	v_mul_f64 v[94:95], v[50:51], s[14:15]
	v_add_f64 v[20:21], v[20:21], v[96:97]
	v_fma_f64 v[96:97], s[16:17], v[22:23], v[94:95]
	v_fma_f64 v[94:95], v[22:23], s[16:17], -v[94:95]
	v_add_f64 v[52:53], v[94:95], v[52:53]
	v_mul_f64 v[94:95], v[50:51], s[28:29]
	v_add_f64 v[86:87], v[96:97], v[86:87]
	v_fma_f64 v[96:97], s[26:27], v[22:23], v[94:95]
	v_fma_f64 v[94:95], v[22:23], s[26:27], -v[94:95]
	s_mov_b32 s11, 0x3fed1bb4
	v_add_f64 v[56:57], v[94:95], v[56:57]
	v_mul_f64 v[94:95], v[50:51], s[10:11]
	v_add_f64 v[96:97], v[96:97], v[100:101]
	v_fma_f64 v[100:101], s[12:13], v[22:23], v[94:95]
	v_fma_f64 v[94:95], v[22:23], s[12:13], -v[94:95]
	v_add_f64 v[94:95], v[94:95], v[98:99]
	v_mul_f64 v[98:99], v[50:51], s[18:19]
	v_add_f64 v[100:101], v[100:101], v[104:105]
	v_fma_f64 v[104:105], s[0:1], v[22:23], v[98:99]
	v_fma_f64 v[98:99], v[22:23], s[0:1], -v[98:99]
	v_mul_f64 v[50:51], v[50:51], s[20:21]
	v_add_f64 v[98:99], v[98:99], v[102:103]
	v_fma_f64 v[102:103], s[22:23], v[22:23], v[50:51]
	v_fma_f64 v[22:23], v[22:23], s[22:23], -v[50:51]
	v_add_f64 v[50:51], v[54:55], -v[90:91]
	v_add_f64 v[16:17], v[22:23], v[16:17]
	v_add_f64 v[22:23], v[88:89], v[92:93]
	v_mul_f64 v[54:55], v[50:51], s[20:21]
	v_add_f64 v[20:21], v[20:21], v[88:89]
	v_fma_f64 v[88:89], s[22:23], v[22:23], v[54:55]
	v_fma_f64 v[54:55], v[22:23], s[22:23], -v[54:55]
	v_add_f64 v[52:53], v[54:55], v[52:53]
	v_mul_f64 v[54:55], v[50:51], s[30:31]
	v_add_f64 v[20:21], v[20:21], v[44:45]
	v_add_f64 v[86:87], v[88:89], v[86:87]
	v_fma_f64 v[88:89], s[16:17], v[22:23], v[54:55]
	v_fma_f64 v[54:55], v[22:23], s[16:17], -v[54:55]
	v_add_f64 v[20:21], v[20:21], v[48:49]
	v_add_f64 v[54:55], v[54:55], v[56:57]
	v_mul_f64 v[56:57], v[50:51], s[18:19]
	v_add_f64 v[20:21], v[20:21], v[92:93]
	v_fma_f64 v[90:91], s[0:1], v[22:23], v[56:57]
	v_fma_f64 v[56:57], v[22:23], s[0:1], -v[56:57]
	v_mul_f64 v[92:93], v[50:51], s[24:25]
	v_mul_f64 v[50:51], v[50:51], s[10:11]
	v_add_f64 v[88:89], v[88:89], v[96:97]
	v_add_f64 v[56:57], v[56:57], v[94:95]
	v_fma_f64 v[94:95], s[26:27], v[22:23], v[92:93]
	v_fma_f64 v[92:93], v[22:23], s[26:27], -v[92:93]
	v_fma_f64 v[96:97], s[12:13], v[22:23], v[50:51]
	v_fma_f64 v[22:23], v[22:23], s[12:13], -v[50:51]
	v_add_f64 v[18:19], v[18:19], -v[46:47]
	v_add_f64 v[16:17], v[22:23], v[16:17]
	v_add_f64 v[22:23], v[44:45], v[48:49]
	v_mul_f64 v[44:45], v[18:19], s[24:25]
	v_fma_f64 v[46:47], s[26:27], v[22:23], v[44:45]
	v_fma_f64 v[44:45], v[22:23], s[26:27], -v[44:45]
	v_mul_f64 v[48:49], v[18:19], s[34:35]
	v_add_f64 v[44:45], v[44:45], v[52:53]
	v_fma_f64 v[50:51], s[0:1], v[22:23], v[48:49]
	v_fma_f64 v[48:49], v[22:23], s[0:1], -v[48:49]
	v_mul_f64 v[52:53], v[18:19], s[20:21]
	v_add_f64 v[48:49], v[48:49], v[54:55]
	v_fma_f64 v[54:55], s[22:23], v[22:23], v[52:53]
	v_fma_f64 v[52:53], v[22:23], s[22:23], -v[52:53]
	v_add_f64 v[52:53], v[52:53], v[56:57]
	v_mul_f64 v[56:57], v[18:19], s[10:11]
	v_mul_f64 v[18:19], v[18:19], s[14:15]
	v_add_f64 v[50:51], v[50:51], v[88:89]
	v_fma_f64 v[88:89], s[16:17], v[22:23], v[18:19]
	v_fma_f64 v[18:19], v[22:23], s[16:17], -v[18:19]
	v_add_f64 v[20:21], v[20:21], v[108:109]
	v_add_f64 v[112:113], v[112:113], v[118:119]
	;; [unrolled: 1-line block ×4, first 2 shown]
	v_mov_b32_e32 v19, 3
	v_add_f64 v[20:21], v[20:21], v[116:117]
	v_add_f64 v[104:105], v[104:105], v[112:113]
	;; [unrolled: 1-line block ×3, first 2 shown]
	v_mul_u32_u24_e32 v18, 0x268, v221
	v_lshlrev_b32_sdwa v19, v19, v222 dst_sel:DWORD dst_unused:UNUSED_PAD src0_sel:DWORD src1_sel:BYTE_0
	v_add_f64 v[20:21], v[20:21], v[126:127]
	v_add_f64 v[90:91], v[90:91], v[100:101]
	;; [unrolled: 1-line block ×6, first 2 shown]
	v_fma_f64 v[86:87], s[12:13], v[22:23], v[56:57]
	v_fma_f64 v[56:57], v[22:23], s[12:13], -v[56:57]
	v_add3_u32 v18, 0, v18, v19
	v_add_f64 v[54:55], v[54:55], v[90:91]
	v_add_f64 v[86:87], v[86:87], v[94:95]
	;; [unrolled: 1-line block ×4, first 2 shown]
	ds_write2_b64 v18, v[20:21], v[46:47] offset1:7
	ds_write2_b64 v18, v[50:51], v[54:55] offset0:14 offset1:21
	ds_write2_b64 v18, v[86:87], v[88:89] offset0:28 offset1:35
	;; [unrolled: 1-line block ×4, first 2 shown]
	ds_write_b64 v18, v[44:45] offset:560
.LBB0_21:
	s_or_b64 exec, exec, s[4:5]
	v_mov_b32_e32 v194, v220
	v_lshlrev_b32_e32 v166, 2, v194
	v_mov_b32_e32 v167, 0
	v_subrev_u32_e32 v16, 22, v194
	v_cmp_gt_u32_e64 s[0:1], 22, v194
	v_accvgpr_read_b32 v17, a0
	v_lshl_add_u64 v[22:23], v[166:167], 4, s[8:9]
	v_cndmask_b32_e64 v16, v16, v17, s[0:1]
	s_waitcnt lgkmcnt(0)
	; wave barrier
	s_waitcnt lgkmcnt(0)
	global_load_dwordx4 v[102:105], v[22:23], off offset:1136
	global_load_dwordx4 v[98:101], v[22:23], off offset:1168
	v_lshlrev_b32_e32 v166, 2, v16
	v_accvgpr_write_b32 a8, v16
	v_lshl_add_u64 v[16:17], v[166:167], 4, s[8:9]
	global_load_dwordx4 v[162:165], v[16:17], off offset:1120
	global_load_dwordx4 v[158:161], v[16:17], off offset:1136
	global_load_dwordx4 v[90:93], v[16:17], off offset:1152
	global_load_dwordx4 v[130:133], v[16:17], off offset:1168
	s_movk_i32 s0, 0xd5
	v_accvgpr_read_b32 v18, a1
	v_mul_lo_u16_sdwa v17, v18, s0 dst_sel:DWORD dst_unused:UNUSED_PAD src0_sel:BYTE_0 src1_sel:DWORD
	v_lshrrev_b16_e32 v19, 14, v17
	v_mul_lo_u16_e32 v17, 0x4d, v19
	v_mov_b32_e32 v16, 6
	v_sub_u16_e32 v17, v18, v17
	v_lshlrev_b32_sdwa v20, v16, v17 dst_sel:DWORD dst_unused:UNUSED_PAD src0_sel:DWORD src1_sel:BYTE_0
	v_accvgpr_write_b32 a9, v19
	v_accvgpr_write_b32 a10, v17
	global_load_dwordx4 v[118:121], v20, s[8:9] offset:1136
	global_load_dwordx4 v[146:149], v20, s[8:9] offset:1120
	ds_read2_b64 v[46:49], v172 offset1:55
	ds_read2_b64 v[16:19], v173 offset0:74 offset1:129
	ds_read2_b64 v[200:203], v195 offset0:2 offset1:57
	ds_read2_b64 v[86:89], v176 offset0:76 offset1:131
	global_load_dwordx4 v[126:129], v20, s[8:9] offset:1168
	global_load_dwordx4 v[134:137], v20, s[8:9] offset:1152
	v_mul_lo_u16_sdwa v20, v223, s0 dst_sel:DWORD dst_unused:UNUSED_PAD src0_sel:BYTE_0 src1_sel:DWORD
	v_lshrrev_b16_e32 v20, 14, v20
	ds_read2_b64 v[204:207], v174 offset0:4 offset1:59
	ds_read2_b64 v[154:157], v173 offset0:184 offset1:239
	;; [unrolled: 1-line block ×5, first 2 shown]
	global_load_dwordx4 v[142:145], v[22:23], off offset:1120
	v_mul_lo_u16_e32 v20, 0x4d, v20
	v_accvgpr_mov_b32 a2, a0
	v_accvgpr_mov_b32 a5, a1
	ds_read2_b64 v[114:117], v174 offset0:114 offset1:169
	ds_read2_b64 v[110:113], v175 offset0:38 offset1:93
	;; [unrolled: 1-line block ×3, first 2 shown]
	v_accvgpr_write_b32 a0, v22
	global_load_dwordx4 v[138:141], v[22:23], off offset:1152
	v_sub_u16_e32 v20, v223, v20
	v_add_u32_e32 v44, 0xdc, v194
	v_accvgpr_write_b32 a1, v23
	s_movk_i32 s1, 0x1a99
	v_and_b32_e32 v22, 0xff, v20
	v_mul_u32_u24_sdwa v21, v44, s1 dst_sel:DWORD dst_unused:UNUSED_PAD src0_sel:WORD_0 src1_sel:DWORD
	v_lshlrev_b32_e32 v20, 6, v22
	ds_read2_b64 v[54:57], v182 offset0:92 offset1:147
	ds_read2_b64 v[94:97], v183 offset0:94 offset1:149
	global_load_dwordx4 v[208:211], v20, s[8:9] offset:1136
	global_load_dwordx4 v[212:215], v20, s[8:9] offset:1120
	v_lshrrev_b32_e32 v166, 19, v21
	v_add_u32_e32 v45, 0x113, v194
	v_mul_lo_u16_e32 v21, 0x4d, v166
	v_accvgpr_write_b32 a11, v22
	v_mul_u32_u24_sdwa v22, v45, s1 dst_sel:DWORD dst_unused:UNUSED_PAD src0_sel:WORD_0 src1_sel:DWORD
	v_sub_u16_e32 v21, v44, v21
	v_lshrrev_b32_e32 v23, 19, v22
	global_load_dwordx4 v[216:219], v20, s[8:9] offset:1168
	global_load_dwordx4 v[228:231], v20, s[8:9] offset:1152
	v_lshlrev_b32_e32 v20, 6, v21
	v_mul_lo_u16_e32 v22, 0x4d, v23
	v_accvgpr_write_b32 a20, v21
	global_load_dwordx4 v[236:239], v20, s[8:9] offset:1168
	global_load_dwordx4 v[240:243], v20, s[8:9] offset:1152
	;; [unrolled: 1-line block ×4, first 2 shown]
	v_accvgpr_write_b32 a19, v166
	v_accvgpr_write_b32 a18, v23
	;; [unrolled: 1-line block ×3, first 2 shown]
	v_sub_u16_e32 v44, v45, v22
	v_accvgpr_write_b32 a14, v195
	v_accvgpr_write_b32 a15, v174
	v_mov_b32_e32 v166, v175
	v_accvgpr_write_b32 a17, v176
	v_mov_b32_e32 v195, v177
	v_add_u32_e32 v168, 0x14a, v194
	v_accvgpr_write_b32 a16, v173
	v_accvgpr_write_b32 a4, v223
	;; [unrolled: 1-line block ×8, first 2 shown]
	s_mov_b32 s4, 0x134454ff
	s_mov_b32 s5, 0x3fee6f0e
	;; [unrolled: 1-line block ×10, first 2 shown]
	s_waitcnt vmcnt(19) lgkmcnt(11)
	v_mul_f64 v[20:21], v[200:201], v[104:105]
	s_waitcnt vmcnt(18) lgkmcnt(9)
	v_mul_f64 v[22:23], v[204:205], v[100:101]
	v_mul_f64 v[174:175], v[78:79], v[100:101]
	v_fma_f64 v[176:177], v[82:83], v[102:103], -v[20:21]
	s_waitcnt vmcnt(17) lgkmcnt(8)
	v_mul_f64 v[20:21], v[154:155], v[164:165]
	v_fma_f64 v[78:79], v[78:79], v[98:99], -v[22:23]
	v_fmac_f64_e32 v[174:175], v[204:205], v[98:99]
	s_waitcnt vmcnt(16)
	v_mul_f64 v[22:23], v[202:203], v[160:161]
	v_mul_f64 v[160:161], v[84:85], v[160:161]
	v_fma_f64 v[98:99], v[74:75], v[162:163], -v[20:21]
	s_waitcnt vmcnt(15) lgkmcnt(7)
	v_mul_f64 v[20:21], v[150:151], v[92:93]
	v_mul_f64 v[164:165], v[74:75], v[164:165]
	v_fma_f64 v[100:101], v[84:85], v[158:159], -v[22:23]
	v_fmac_f64_e32 v[160:161], v[202:203], v[158:159]
	v_fma_f64 v[158:159], v[70:71], v[90:91], -v[20:21]
	s_waitcnt vmcnt(14)
	v_mul_f64 v[20:21], v[206:207], v[132:133]
	v_mul_f64 v[172:173], v[82:83], v[104:105]
	v_fmac_f64_e32 v[164:165], v[154:155], v[162:163]
	v_lshlrev_b32_e32 v22, 6, v44
	v_fma_f64 v[162:163], v[80:81], v[130:131], -v[20:21]
	v_mul_u32_u24_sdwa v20, v168, s1 dst_sel:DWORD dst_unused:UNUSED_PAD src0_sel:WORD_0 src1_sel:DWORD
	v_fmac_f64_e32 v[172:173], v[200:201], v[102:103]
	global_load_dwordx4 v[200:203], v22, s[8:9] offset:1136
	global_load_dwordx4 v[252:255], v22, s[8:9] offset:1120
	v_lshrrev_b32_e32 v20, 19, v20
	v_mul_lo_u16_e32 v20, 0x4d, v20
	global_load_dwordx4 v[220:223], v22, s[8:9] offset:1168
	global_load_dwordx4 v[196:199], v22, s[8:9] offset:1152
	v_sub_u16_e32 v20, v168, v20
	v_mul_f64 v[132:133], v[80:81], v[132:133]
	v_lshlrev_b32_e32 v22, 6, v20
	v_fmac_f64_e32 v[132:133], v[206:207], v[130:131]
	global_load_dwordx4 v[204:207], v22, s[8:9] offset:1136
	global_load_dwordx4 v[178:181], v22, s[8:9] offset:1120
	ds_read2_b64 v[190:193], v184 offset0:96 offset1:151
	global_load_dwordx4 v[168:171], v22, s[8:9] offset:1168
	global_load_dwordx4 v[232:235], v22, s[8:9] offset:1152
	s_waitcnt vmcnt(17)
	v_mul_f64 v[44:45], v[18:19], v[144:145]
	v_mul_f64 v[154:155], v[70:71], v[92:93]
	v_accvgpr_write_b32 a22, v20
	v_mul_f64 v[20:21], v[156:157], v[148:149]
	v_mul_f64 v[148:149], v[76:77], v[148:149]
	v_fma_f64 v[70:71], v[2:3], v[142:143], -v[44:45]
	v_mul_f64 v[80:81], v[2:3], v[144:145]
	s_waitcnt vmcnt(16)
	v_mul_f64 v[2:3], v[88:89], v[140:141]
	v_fmac_f64_e32 v[154:155], v[150:151], v[90:91]
	v_fma_f64 v[150:151], v[76:77], v[146:147], -v[20:21]
	v_fmac_f64_e32 v[148:149], v[156:157], v[146:147]
	v_mul_f64 v[146:147], v[72:73], v[136:137]
	v_fma_f64 v[130:131], v[188:189], v[138:139], -v[2:3]
	s_waitcnt lgkmcnt(6)
	v_mul_f64 v[2:3], v[122:123], v[120:121]
	v_mul_f64 v[20:21], v[152:153], v[136:137]
	v_fmac_f64_e32 v[146:147], v[152:153], v[134:135]
	v_mul_f64 v[152:153], v[188:189], v[140:141]
	v_fma_f64 v[144:145], v[66:67], v[118:119], -v[2:3]
	v_mul_f64 v[140:141], v[66:67], v[120:121]
	s_waitcnt lgkmcnt(5)
	v_mul_f64 v[2:3], v[114:115], v[128:129]
	v_fmac_f64_e32 v[140:141], v[122:123], v[118:119]
	v_fma_f64 v[122:123], v[62:63], v[126:127], -v[2:3]
	s_waitcnt vmcnt(14) lgkmcnt(4)
	v_mul_f64 v[2:3], v[110:111], v[214:215]
	v_fmac_f64_e32 v[80:81], v[18:19], v[142:143]
	v_mul_f64 v[142:143], v[62:63], v[128:129]
	v_fma_f64 v[128:129], v[58:59], v[212:213], -v[2:3]
	v_accvgpr_read_b32 v2, a28              ;  Reload Reuse
	ds_read_b64 v[18:19], v2 offset:14960
	v_mul_f64 v[2:3], v[124:125], v[210:211]
	v_fma_f64 v[156:157], v[72:73], v[134:135], -v[20:21]
	v_fma_f64 v[134:135], v[68:69], v[208:209], -v[2:3]
	s_waitcnt vmcnt(12) lgkmcnt(4)
	v_mul_f64 v[2:3], v[106:107], v[230:231]
	ds_read2_b64 v[20:23], v166 offset0:148 offset1:203
	v_fma_f64 v[136:137], v[40:41], v[228:229], -v[2:3]
	v_mul_f64 v[2:3], v[116:117], v[218:219]
	v_fmac_f64_e32 v[152:153], v[88:89], v[138:139]
	v_fma_f64 v[138:139], v[64:65], v[216:217], -v[2:3]
	s_waitcnt vmcnt(8)
	v_mul_f64 v[2:3], v[112:113], v[250:251]
	ds_read2_b64 v[182:185], v195 offset0:150 offset1:205
	v_fma_f64 v[92:93], v[60:61], v[248:249], -v[2:3]
	s_waitcnt lgkmcnt(4)
	v_mul_f64 v[2:3], v[94:95], v[246:247]
	v_mul_f64 v[120:121], v[68:69], v[210:211]
	v_fma_f64 v[102:103], v[36:37], v[244:245], -v[2:3]
	v_mul_f64 v[2:3], v[108:109], v[242:243]
	v_fmac_f64_e32 v[120:121], v[124:125], v[208:209]
	v_mul_f64 v[124:125], v[40:41], v[230:231]
	v_fma_f64 v[104:105], v[42:43], v[240:241], -v[2:3]
	s_waitcnt lgkmcnt(3)
	v_mul_f64 v[2:3], v[190:191], v[238:239]
	v_fmac_f64_e32 v[124:125], v[106:107], v[228:229]
	v_fma_f64 v[106:107], v[32:33], v[236:237], -v[2:3]
	v_fmac_f64_e32 v[142:143], v[114:115], v[126:127]
	v_mul_f64 v[126:127], v[64:65], v[218:219]
	v_mul_f64 v[82:83], v[60:61], v[250:251]
	;; [unrolled: 1-line block ×6, first 2 shown]
	v_add_f64 v[66:67], v[172:173], -v[152:153]
	v_add_f64 v[44:45], v[70:71], -v[176:177]
	;; [unrolled: 1-line block ×3, first 2 shown]
	v_add_f64 v[44:45], v[44:45], v[58:59]
	v_add_f64 v[68:69], v[130:131], -v[78:79]
	v_fmac_f64_e32 v[84:85], v[94:95], v[244:245]
	v_add_f64 v[94:95], v[164:165], -v[132:133]
	v_fmac_f64_e32 v[88:89], v[108:109], v[240:241]
	;; [unrolled: 2-line block ×3, first 2 shown]
	v_add_f64 v[110:111], v[158:159], -v[162:163]
	s_waitcnt vmcnt(7)
	v_mul_f64 v[42:43], v[38:39], v[202:203]
	s_waitcnt vmcnt(6) lgkmcnt(1)
	v_mul_f64 v[2:3], v[20:21], v[254:255]
	v_fma_f64 v[64:65], v[28:29], v[252:253], -v[2:3]
	v_mul_f64 v[2:3], v[96:97], v[202:203]
	v_fma_f64 v[72:73], v[38:39], v[200:201], -v[2:3]
	s_waitcnt vmcnt(4) lgkmcnt(0)
	v_mul_f64 v[2:3], v[182:183], v[198:199]
	v_fma_f64 v[74:75], v[24:25], v[196:197], -v[2:3]
	v_mul_f64 v[2:3], v[192:193], v[222:223]
	v_mul_f64 v[60:61], v[24:25], v[198:199]
	v_fma_f64 v[76:77], v[34:35], v[220:221], -v[2:3]
	s_waitcnt vmcnt(2)
	v_mul_f64 v[2:3], v[22:23], v[180:181]
	v_accvgpr_read_b32 v25, a13
	v_fma_f64 v[32:33], v[30:31], v[178:179], -v[2:3]
	v_mul_f64 v[2:3], v[30:31], v[180:181]
	v_accvgpr_read_b32 v24, a12
	v_mul_f64 v[40:41], v[28:29], v[254:255]
	v_fmac_f64_e32 v[2:3], v[22:23], v[178:179]
	s_waitcnt vmcnt(0)
	v_mul_f64 v[22:23], v[184:185], v[234:235]
	v_mul_f64 v[28:29], v[24:25], v[170:171]
	v_fma_f64 v[36:37], v[26:27], v[232:233], -v[22:23]
	v_mul_f64 v[22:23], v[18:19], v[170:171]
	v_fmac_f64_e32 v[28:29], v[18:19], v[168:169]
	v_add_f64 v[18:19], v[12:13], v[70:71]
	v_add_f64 v[18:19], v[18:19], v[176:177]
	;; [unrolled: 1-line block ×3, first 2 shown]
	v_fma_f64 v[38:39], v[24:25], v[168:169], -v[22:23]
	v_add_f64 v[22:23], v[18:19], v[78:79]
	v_add_f64 v[18:19], v[176:177], v[130:131]
	v_fma_f64 v[24:25], -0.5, v[18:19], v[12:13]
	v_add_f64 v[18:19], v[80:81], -v[174:175]
	v_fma_f64 v[30:31], s[4:5], v[18:19], v[24:25]
	v_fmac_f64_e32 v[24:25], s[14:15], v[18:19]
	v_fmac_f64_e32 v[30:31], s[10:11], v[66:67]
	;; [unrolled: 1-line block ×5, first 2 shown]
	v_add_f64 v[44:45], v[70:71], v[78:79]
	v_fma_f64 v[44:45], -0.5, v[44:45], v[12:13]
	v_fma_f64 v[58:59], s[14:15], v[66:67], v[44:45]
	v_fmac_f64_e32 v[44:45], s[4:5], v[66:67]
	v_fmac_f64_e32 v[40:41], v[20:21], v[252:253]
	v_mul_f64 v[20:21], v[86:87], v[206:207]
	v_fmac_f64_e32 v[58:59], s[10:11], v[18:19]
	v_fmac_f64_e32 v[44:45], s[16:17], v[18:19]
	v_add_f64 v[18:19], v[172:173], v[152:153]
	v_mul_f64 v[62:63], v[34:35], v[222:223]
	v_fma_f64 v[34:35], v[186:187], v[204:205], -v[20:21]
	v_mul_f64 v[20:21], v[186:187], v[206:207]
	v_add_f64 v[12:13], v[176:177], -v[70:71]
	v_fma_f64 v[18:19], -0.5, v[18:19], v[46:47]
	v_add_f64 v[78:79], v[70:71], -v[78:79]
	v_fmac_f64_e32 v[20:21], v[86:87], v[204:205]
	v_add_f64 v[12:13], v[12:13], v[68:69]
	v_fma_f64 v[66:67], s[14:15], v[78:79], v[18:19]
	v_add_f64 v[86:87], v[176:177], -v[130:131]
	v_add_f64 v[68:69], v[80:81], -v[172:173]
	;; [unrolled: 1-line block ×3, first 2 shown]
	v_fmac_f64_e32 v[18:19], s[4:5], v[78:79]
	v_fmac_f64_e32 v[66:67], s[16:17], v[86:87]
	v_add_f64 v[68:69], v[68:69], v[70:71]
	v_fmac_f64_e32 v[18:19], s[10:11], v[86:87]
	v_fmac_f64_e32 v[66:67], s[12:13], v[68:69]
	;; [unrolled: 1-line block ×3, first 2 shown]
	v_add_f64 v[68:69], v[80:81], v[174:175]
	v_fma_f64 v[68:69], -0.5, v[68:69], v[46:47]
	v_fma_f64 v[70:71], s[4:5], v[86:87], v[68:69]
	v_fmac_f64_e32 v[68:69], s[14:15], v[86:87]
	v_fmac_f64_e32 v[70:71], s[16:17], v[78:79]
	;; [unrolled: 1-line block ×3, first 2 shown]
	v_add_f64 v[78:79], v[100:101], v[158:159]
	v_fmac_f64_e32 v[58:59], s[12:13], v[12:13]
	v_fmac_f64_e32 v[44:45], s[12:13], v[12:13]
	v_add_f64 v[12:13], v[46:47], v[80:81]
	v_add_f64 v[46:47], v[172:173], -v[80:81]
	v_add_f64 v[80:81], v[152:153], -v[174:175]
	v_fma_f64 v[78:79], -0.5, v[78:79], v[14:15]
	v_fmac_f64_e32 v[42:43], v[96:97], v[200:201]
	v_add_f64 v[46:47], v[46:47], v[80:81]
	v_fma_f64 v[80:81], s[4:5], v[94:95], v[78:79]
	v_add_f64 v[96:97], v[160:161], -v[154:155]
	v_add_f64 v[86:87], v[98:99], -v[100:101]
	v_fmac_f64_e32 v[78:79], s[14:15], v[94:95]
	v_fmac_f64_e32 v[80:81], s[10:11], v[96:97]
	v_add_f64 v[86:87], v[86:87], v[108:109]
	v_fmac_f64_e32 v[78:79], s[16:17], v[96:97]
	v_fmac_f64_e32 v[80:81], s[12:13], v[86:87]
	;; [unrolled: 1-line block ×3, first 2 shown]
	v_add_f64 v[86:87], v[98:99], v[162:163]
	v_fmac_f64_e32 v[70:71], s[12:13], v[46:47]
	v_fmac_f64_e32 v[68:69], s[12:13], v[46:47]
	v_add_f64 v[46:47], v[14:15], v[98:99]
	v_fmac_f64_e32 v[14:15], -0.5, v[86:87]
	v_fma_f64 v[86:87], s[14:15], v[96:97], v[14:15]
	v_add_f64 v[108:109], v[100:101], -v[98:99]
	v_fmac_f64_e32 v[14:15], s[4:5], v[96:97]
	v_fmac_f64_e32 v[86:87], s[10:11], v[94:95]
	v_add_f64 v[108:109], v[108:109], v[110:111]
	v_fmac_f64_e32 v[14:15], s[16:17], v[94:95]
	v_add_f64 v[96:97], v[160:161], v[154:155]
	v_fmac_f64_e32 v[86:87], s[12:13], v[108:109]
	v_fmac_f64_e32 v[14:15], s[12:13], v[108:109]
	v_fma_f64 v[96:97], -0.5, v[96:97], v[48:49]
	v_add_f64 v[108:109], v[98:99], -v[162:163]
	v_fmac_f64_e32 v[82:83], v[112:113], v[248:249]
	v_add_f64 v[46:47], v[46:47], v[100:101]
	v_fma_f64 v[98:99], s[14:15], v[108:109], v[96:97]
	v_add_f64 v[110:111], v[100:101], -v[158:159]
	v_add_f64 v[100:101], v[164:165], -v[160:161]
	;; [unrolled: 1-line block ×3, first 2 shown]
	v_fmac_f64_e32 v[96:97], s[4:5], v[108:109]
	v_fmac_f64_e32 v[98:99], s[16:17], v[110:111]
	v_add_f64 v[100:101], v[100:101], v[112:113]
	v_fmac_f64_e32 v[96:97], s[10:11], v[110:111]
	v_fmac_f64_e32 v[98:99], s[12:13], v[100:101]
	;; [unrolled: 1-line block ×3, first 2 shown]
	v_add_f64 v[100:101], v[164:165], v[132:133]
	v_add_f64 v[94:95], v[48:49], v[164:165]
	v_fmac_f64_e32 v[48:49], -0.5, v[100:101]
	v_add_f64 v[94:95], v[94:95], v[160:161]
	v_fma_f64 v[100:101], s[4:5], v[110:111], v[48:49]
	v_add_f64 v[112:113], v[160:161], -v[164:165]
	v_add_f64 v[114:115], v[154:155], -v[132:133]
	v_fmac_f64_e32 v[48:49], s[14:15], v[110:111]
	v_add_f64 v[110:111], v[144:145], v[156:157]
	v_add_f64 v[94:95], v[94:95], v[154:155]
	v_fmac_f64_e32 v[100:101], s[16:17], v[108:109]
	v_add_f64 v[112:113], v[112:113], v[114:115]
	v_fmac_f64_e32 v[48:49], s[10:11], v[108:109]
	v_fma_f64 v[110:111], -0.5, v[110:111], v[8:9]
	v_add_f64 v[114:115], v[148:149], -v[142:143]
	v_fmac_f64_e32 v[126:127], v[116:117], v[216:217]
	v_add_f64 v[94:95], v[94:95], v[132:133]
	v_fmac_f64_e32 v[100:101], s[12:13], v[112:113]
	v_fmac_f64_e32 v[48:49], s[12:13], v[112:113]
	v_fma_f64 v[112:113], s[4:5], v[114:115], v[110:111]
	v_add_f64 v[116:117], v[140:141], -v[146:147]
	v_add_f64 v[130:131], v[150:151], -v[144:145]
	;; [unrolled: 1-line block ×3, first 2 shown]
	v_fmac_f64_e32 v[110:111], s[14:15], v[114:115]
	v_fmac_f64_e32 v[112:113], s[10:11], v[116:117]
	v_add_f64 v[130:131], v[130:131], v[132:133]
	v_fmac_f64_e32 v[110:111], s[16:17], v[116:117]
	v_fmac_f64_e32 v[112:113], s[12:13], v[130:131]
	;; [unrolled: 1-line block ×3, first 2 shown]
	v_add_f64 v[130:131], v[150:151], v[122:123]
	v_fma_f64 v[130:131], -0.5, v[130:131], v[8:9]
	v_add_f64 v[108:109], v[8:9], v[150:151]
	v_fma_f64 v[132:133], s[14:15], v[116:117], v[130:131]
	v_fmac_f64_e32 v[130:131], s[4:5], v[116:117]
	v_add_f64 v[12:13], v[12:13], v[172:173]
	v_add_f64 v[108:109], v[108:109], v[144:145]
	v_fmac_f64_e32 v[132:133], s[10:11], v[114:115]
	v_fmac_f64_e32 v[130:131], s[16:17], v[114:115]
	v_add_f64 v[114:115], v[140:141], v[146:147]
	v_add_f64 v[12:13], v[12:13], v[152:153]
	;; [unrolled: 1-line block ×3, first 2 shown]
	v_add_f64 v[8:9], v[144:145], -v[150:151]
	v_add_f64 v[152:153], v[156:157], -v[122:123]
	v_fma_f64 v[114:115], -0.5, v[114:115], v[50:51]
	v_add_f64 v[150:151], v[150:151], -v[122:123]
	v_add_f64 v[108:109], v[108:109], v[122:123]
	v_add_f64 v[8:9], v[8:9], v[152:153]
	v_fma_f64 v[116:117], s[14:15], v[150:151], v[114:115]
	v_add_f64 v[144:145], v[144:145], -v[156:157]
	v_add_f64 v[122:123], v[148:149], -v[140:141]
	;; [unrolled: 1-line block ×3, first 2 shown]
	v_fmac_f64_e32 v[114:115], s[4:5], v[150:151]
	v_fmac_f64_e32 v[132:133], s[12:13], v[8:9]
	;; [unrolled: 1-line block ×3, first 2 shown]
	v_add_f64 v[8:9], v[50:51], v[148:149]
	v_fmac_f64_e32 v[116:117], s[16:17], v[144:145]
	v_add_f64 v[122:123], v[122:123], v[152:153]
	v_fmac_f64_e32 v[114:115], s[10:11], v[144:145]
	;; [unrolled: 2-line block ×3, first 2 shown]
	v_fmac_f64_e32 v[114:115], s[12:13], v[122:123]
	v_add_f64 v[122:123], v[148:149], v[142:143]
	v_add_f64 v[8:9], v[8:9], v[146:147]
	v_fma_f64 v[50:51], -0.5, v[122:123], v[50:51]
	v_add_f64 v[8:9], v[8:9], v[142:143]
	v_fma_f64 v[122:123], s[4:5], v[144:145], v[50:51]
	v_add_f64 v[140:141], v[140:141], -v[148:149]
	v_add_f64 v[142:143], v[146:147], -v[142:143]
	v_fmac_f64_e32 v[50:51], s[14:15], v[144:145]
	v_fmac_f64_e32 v[122:123], s[16:17], v[150:151]
	v_add_f64 v[140:141], v[140:141], v[142:143]
	v_fmac_f64_e32 v[50:51], s[10:11], v[150:151]
	v_fmac_f64_e32 v[122:123], s[12:13], v[140:141]
	;; [unrolled: 1-line block ×3, first 2 shown]
	v_add_f64 v[140:141], v[10:11], v[128:129]
	v_add_f64 v[140:141], v[140:141], v[134:135]
	;; [unrolled: 1-line block ×5, first 2 shown]
	v_fma_f64 v[146:147], -0.5, v[140:141], v[10:11]
	v_add_f64 v[140:141], v[118:119], -v[126:127]
	v_fma_f64 v[148:149], s[4:5], v[140:141], v[146:147]
	v_add_f64 v[142:143], v[120:121], -v[124:125]
	v_add_f64 v[150:151], v[128:129], -v[134:135]
	;; [unrolled: 1-line block ×3, first 2 shown]
	v_fmac_f64_e32 v[146:147], s[14:15], v[140:141]
	v_fmac_f64_e32 v[148:149], s[10:11], v[142:143]
	v_add_f64 v[150:151], v[150:151], v[152:153]
	v_fmac_f64_e32 v[146:147], s[16:17], v[142:143]
	v_fmac_f64_e32 v[148:149], s[12:13], v[150:151]
	;; [unrolled: 1-line block ×3, first 2 shown]
	v_add_f64 v[150:151], v[128:129], v[138:139]
	v_fmac_f64_e32 v[10:11], -0.5, v[150:151]
	v_fma_f64 v[150:151], s[14:15], v[142:143], v[10:11]
	v_add_f64 v[152:153], v[134:135], -v[128:129]
	v_add_f64 v[154:155], v[136:137], -v[138:139]
	v_fmac_f64_e32 v[10:11], s[4:5], v[142:143]
	v_add_f64 v[142:143], v[120:121], v[124:125]
	v_fmac_f64_e32 v[150:151], s[10:11], v[140:141]
	v_add_f64 v[152:153], v[152:153], v[154:155]
	v_fmac_f64_e32 v[10:11], s[16:17], v[140:141]
	v_fma_f64 v[142:143], -0.5, v[142:143], v[52:53]
	v_add_f64 v[138:139], v[128:129], -v[138:139]
	v_fmac_f64_e32 v[150:151], s[12:13], v[152:153]
	v_fmac_f64_e32 v[10:11], s[12:13], v[152:153]
	v_fma_f64 v[128:129], s[14:15], v[138:139], v[142:143]
	v_add_f64 v[136:137], v[134:135], -v[136:137]
	v_add_f64 v[134:135], v[118:119], -v[120:121]
	;; [unrolled: 1-line block ×3, first 2 shown]
	v_fmac_f64_e32 v[142:143], s[4:5], v[138:139]
	v_fmac_f64_e32 v[128:129], s[16:17], v[136:137]
	v_add_f64 v[134:135], v[134:135], v[152:153]
	v_fmac_f64_e32 v[142:143], s[10:11], v[136:137]
	v_fmac_f64_e32 v[128:129], s[12:13], v[134:135]
	;; [unrolled: 1-line block ×3, first 2 shown]
	v_add_f64 v[134:135], v[118:119], v[126:127]
	v_add_f64 v[140:141], v[52:53], v[118:119]
	v_fmac_f64_e32 v[52:53], -0.5, v[134:135]
	v_add_f64 v[140:141], v[140:141], v[120:121]
	v_fma_f64 v[134:135], s[4:5], v[136:137], v[52:53]
	v_add_f64 v[118:119], v[120:121], -v[118:119]
	v_add_f64 v[120:121], v[124:125], -v[126:127]
	v_fmac_f64_e32 v[52:53], s[14:15], v[136:137]
	v_fmac_f64_e32 v[134:135], s[16:17], v[138:139]
	v_add_f64 v[118:119], v[118:119], v[120:121]
	v_fmac_f64_e32 v[52:53], s[10:11], v[138:139]
	v_fmac_f64_e32 v[134:135], s[12:13], v[118:119]
	;; [unrolled: 1-line block ×3, first 2 shown]
	v_add_f64 v[118:119], v[4:5], v[92:93]
	v_add_f64 v[118:119], v[118:119], v[102:103]
	;; [unrolled: 1-line block ×3, first 2 shown]
	v_fmac_f64_e32 v[90:91], v[190:191], v[236:237]
	v_add_f64 v[140:141], v[140:141], v[124:125]
	v_add_f64 v[124:125], v[118:119], v[106:107]
	;; [unrolled: 1-line block ×4, first 2 shown]
	v_fma_f64 v[126:127], -0.5, v[118:119], v[4:5]
	v_add_f64 v[118:119], v[82:83], -v[90:91]
	v_fma_f64 v[136:137], s[4:5], v[118:119], v[126:127]
	v_add_f64 v[120:121], v[84:85], -v[88:89]
	v_add_f64 v[138:139], v[92:93], -v[102:103]
	;; [unrolled: 1-line block ×3, first 2 shown]
	v_fmac_f64_e32 v[126:127], s[14:15], v[118:119]
	v_fmac_f64_e32 v[136:137], s[10:11], v[120:121]
	v_add_f64 v[138:139], v[138:139], v[152:153]
	v_fmac_f64_e32 v[126:127], s[16:17], v[120:121]
	v_fmac_f64_e32 v[136:137], s[12:13], v[138:139]
	;; [unrolled: 1-line block ×3, first 2 shown]
	v_add_f64 v[138:139], v[92:93], v[106:107]
	v_fma_f64 v[138:139], -0.5, v[138:139], v[4:5]
	v_fma_f64 v[152:153], s[14:15], v[120:121], v[138:139]
	v_fmac_f64_e32 v[138:139], s[4:5], v[120:121]
	v_fmac_f64_e32 v[152:153], s[10:11], v[118:119]
	;; [unrolled: 1-line block ×3, first 2 shown]
	v_add_f64 v[118:119], v[84:85], v[88:89]
	v_add_f64 v[4:5], v[102:103], -v[92:93]
	v_add_f64 v[154:155], v[104:105], -v[106:107]
	v_fma_f64 v[118:119], -0.5, v[118:119], v[54:55]
	v_add_f64 v[92:93], v[92:93], -v[106:107]
	v_add_f64 v[4:5], v[4:5], v[154:155]
	v_fma_f64 v[120:121], s[14:15], v[92:93], v[118:119]
	v_add_f64 v[102:103], v[102:103], -v[104:105]
	v_add_f64 v[104:105], v[82:83], -v[84:85]
	;; [unrolled: 1-line block ×3, first 2 shown]
	v_fmac_f64_e32 v[118:119], s[4:5], v[92:93]
	v_fmac_f64_e32 v[152:153], s[12:13], v[4:5]
	;; [unrolled: 1-line block ×3, first 2 shown]
	v_add_f64 v[4:5], v[54:55], v[82:83]
	v_fmac_f64_e32 v[120:121], s[16:17], v[102:103]
	v_add_f64 v[104:105], v[104:105], v[106:107]
	v_fmac_f64_e32 v[118:119], s[10:11], v[102:103]
	v_add_f64 v[4:5], v[4:5], v[84:85]
	v_fmac_f64_e32 v[120:121], s[12:13], v[104:105]
	v_fmac_f64_e32 v[118:119], s[12:13], v[104:105]
	v_add_f64 v[104:105], v[82:83], v[90:91]
	v_add_f64 v[82:83], v[84:85], -v[82:83]
	v_add_f64 v[84:85], v[88:89], -v[90:91]
	v_fmac_f64_e32 v[62:63], v[192:193], v[220:221]
	v_fma_f64 v[54:55], -0.5, v[104:105], v[54:55]
	v_add_f64 v[82:83], v[82:83], v[84:85]
	v_add_f64 v[84:85], v[72:73], v[74:75]
	v_fmac_f64_e32 v[60:61], v[182:183], v[196:197]
	v_add_f64 v[4:5], v[4:5], v[88:89]
	v_fma_f64 v[154:155], s[4:5], v[102:103], v[54:55]
	v_fmac_f64_e32 v[54:55], s[14:15], v[102:103]
	v_fma_f64 v[84:85], -0.5, v[84:85], v[6:7]
	v_add_f64 v[88:89], v[40:41], -v[62:63]
	v_add_f64 v[4:5], v[4:5], v[90:91]
	v_fmac_f64_e32 v[154:155], s[16:17], v[92:93]
	v_fmac_f64_e32 v[54:55], s[10:11], v[92:93]
	v_fma_f64 v[90:91], s[4:5], v[88:89], v[84:85]
	v_add_f64 v[92:93], v[42:43], -v[60:61]
	v_add_f64 v[102:103], v[64:65], -v[72:73]
	;; [unrolled: 1-line block ×3, first 2 shown]
	v_fmac_f64_e32 v[84:85], s[14:15], v[88:89]
	v_fmac_f64_e32 v[90:91], s[10:11], v[92:93]
	v_add_f64 v[102:103], v[102:103], v[104:105]
	v_fmac_f64_e32 v[84:85], s[16:17], v[92:93]
	v_fmac_f64_e32 v[90:91], s[12:13], v[102:103]
	;; [unrolled: 1-line block ×3, first 2 shown]
	v_add_f64 v[102:103], v[64:65], v[76:77]
	v_fmac_f64_e32 v[154:155], s[12:13], v[82:83]
	v_fmac_f64_e32 v[54:55], s[12:13], v[82:83]
	v_add_f64 v[82:83], v[6:7], v[64:65]
	v_fmac_f64_e32 v[6:7], -0.5, v[102:103]
	v_fma_f64 v[102:103], s[14:15], v[92:93], v[6:7]
	v_fmac_f64_e32 v[6:7], s[4:5], v[92:93]
	v_fmac_f64_e32 v[102:103], s[10:11], v[88:89]
	;; [unrolled: 1-line block ×3, first 2 shown]
	v_add_f64 v[88:89], v[56:57], v[40:41]
	v_add_f64 v[88:89], v[88:89], v[42:43]
	;; [unrolled: 1-line block ×8, first 2 shown]
	v_add_f64 v[104:105], v[72:73], -v[64:65]
	v_fma_f64 v[158:159], -0.5, v[88:89], v[56:57]
	v_add_f64 v[64:65], v[64:65], -v[76:77]
	v_add_f64 v[82:83], v[82:83], v[76:77]
	v_add_f64 v[106:107], v[74:75], -v[76:77]
	v_fma_f64 v[160:161], s[14:15], v[64:65], v[158:159]
	v_add_f64 v[72:73], v[72:73], -v[74:75]
	v_add_f64 v[74:75], v[40:41], -v[42:43]
	;; [unrolled: 1-line block ×3, first 2 shown]
	v_fmac_f64_e32 v[158:159], s[4:5], v[64:65]
	v_fmac_f64_e32 v[160:161], s[16:17], v[72:73]
	v_add_f64 v[74:75], v[74:75], v[76:77]
	v_fmac_f64_e32 v[158:159], s[10:11], v[72:73]
	v_fmac_f64_e32 v[160:161], s[12:13], v[74:75]
	;; [unrolled: 1-line block ×3, first 2 shown]
	v_add_f64 v[74:75], v[40:41], v[62:63]
	v_add_f64 v[40:41], v[42:43], -v[40:41]
	v_add_f64 v[42:43], v[60:61], -v[62:63]
	v_mul_f64 v[26:27], v[26:27], v[234:235]
	v_fmac_f64_e32 v[56:57], -0.5, v[74:75]
	v_add_f64 v[40:41], v[40:41], v[42:43]
	v_add_f64 v[42:43], v[34:35], v[36:37]
	v_fmac_f64_e32 v[26:27], v[184:185], v[232:233]
	v_add_f64 v[46:47], v[46:47], v[162:163]
	v_fma_f64 v[162:163], s[4:5], v[72:73], v[56:57]
	v_fmac_f64_e32 v[56:57], s[14:15], v[72:73]
	v_fma_f64 v[42:43], -0.5, v[42:43], v[0:1]
	v_add_f64 v[60:61], v[2:3], -v[28:29]
	v_fmac_f64_e32 v[162:163], s[16:17], v[64:65]
	v_fmac_f64_e32 v[56:57], s[10:11], v[64:65]
	v_fma_f64 v[62:63], s[4:5], v[60:61], v[42:43]
	v_add_f64 v[64:65], v[20:21], -v[26:27]
	v_add_f64 v[72:73], v[32:33], -v[34:35]
	v_add_f64 v[74:75], v[38:39], -v[36:37]
	v_fmac_f64_e32 v[42:43], s[14:15], v[60:61]
	v_fmac_f64_e32 v[62:63], s[10:11], v[64:65]
	v_add_f64 v[72:73], v[72:73], v[74:75]
	v_fmac_f64_e32 v[42:43], s[16:17], v[64:65]
	v_fmac_f64_e32 v[62:63], s[12:13], v[72:73]
	;; [unrolled: 1-line block ×3, first 2 shown]
	v_add_f64 v[72:73], v[32:33], v[38:39]
	v_fmac_f64_e32 v[162:163], s[12:13], v[40:41]
	v_fmac_f64_e32 v[56:57], s[12:13], v[40:41]
	v_add_f64 v[40:41], v[0:1], v[32:33]
	v_fmac_f64_e32 v[0:1], -0.5, v[72:73]
	v_fma_f64 v[72:73], s[14:15], v[64:65], v[0:1]
	v_fmac_f64_e32 v[0:1], s[4:5], v[64:65]
	v_fmac_f64_e32 v[72:73], s[10:11], v[60:61]
	;; [unrolled: 1-line block ×3, first 2 shown]
	v_add_f64 v[60:61], v[16:17], v[2:3]
	v_add_f64 v[60:61], v[60:61], v[20:21]
	;; [unrolled: 1-line block ×7, first 2 shown]
	v_add_f64 v[74:75], v[34:35], -v[32:33]
	v_fma_f64 v[168:169], -0.5, v[60:61], v[16:17]
	v_add_f64 v[32:33], v[32:33], -v[38:39]
	v_add_f64 v[40:41], v[40:41], v[38:39]
	v_add_f64 v[76:77], v[36:37], -v[38:39]
	v_fma_f64 v[170:171], s[14:15], v[32:33], v[168:169]
	v_add_f64 v[34:35], v[34:35], -v[36:37]
	v_add_f64 v[36:37], v[2:3], -v[20:21]
	;; [unrolled: 1-line block ×3, first 2 shown]
	v_fmac_f64_e32 v[168:169], s[4:5], v[32:33]
	v_fmac_f64_e32 v[170:171], s[16:17], v[34:35]
	v_add_f64 v[36:37], v[36:37], v[38:39]
	v_fmac_f64_e32 v[168:169], s[10:11], v[34:35]
	v_fmac_f64_e32 v[170:171], s[12:13], v[36:37]
	v_fmac_f64_e32 v[168:169], s[12:13], v[36:37]
	v_add_f64 v[36:37], v[2:3], v[28:29]
	v_fmac_f64_e32 v[16:17], -0.5, v[36:37]
	v_fma_f64 v[172:173], s[4:5], v[34:35], v[16:17]
	v_add_f64 v[2:3], v[20:21], -v[2:3]
	v_add_f64 v[20:21], v[26:27], -v[28:29]
	v_fmac_f64_e32 v[16:17], s[14:15], v[34:35]
	v_fmac_f64_e32 v[172:173], s[16:17], v[32:33]
	v_add_f64 v[2:3], v[2:3], v[20:21]
	v_fmac_f64_e32 v[16:17], s[10:11], v[32:33]
	v_fmac_f64_e32 v[172:173], s[12:13], v[2:3]
	;; [unrolled: 1-line block ×3, first 2 shown]
	v_mov_b32_e32 v2, 0xc08
	v_cmp_lt_u32_e64 s[0:1], 21, v194
	v_accvgpr_read_b32 v3, a8
	v_lshlrev_b32_e32 v3, 3, v3
	v_cndmask_b32_e64 v2, 0, v2, s[0:1]
	v_accvgpr_read_b32 v191, a28            ;  Reload Reuse
	v_add3_u32 v2, 0, v2, v3
	s_waitcnt lgkmcnt(0)
	; wave barrier
	ds_write2_b64 v191, v[22:23], v[30:31] offset1:77
	ds_write2_b64 v191, v[58:59], v[44:45] offset0:154 offset1:231
	ds_write_b64 v191, v[24:25] offset:2464
	ds_write2_b64 v2, v[46:47], v[80:81] offset1:77
	ds_write2_b64 v2, v[86:87], v[14:15] offset0:154 offset1:231
	ds_write_b64 v2, v[78:79] offset:2464
	v_accvgpr_read_b32 v3, a9
	v_mov_b32_e32 v14, 3
	v_accvgpr_read_b32 v15, a10
	v_mul_u32_u24_e32 v3, 0xc08, v3
	v_lshlrev_b32_sdwa v14, v14, v15 dst_sel:DWORD dst_unused:UNUSED_PAD src0_sel:DWORD src1_sel:BYTE_0
	v_add3_u32 v3, 0, v3, v14
	v_accvgpr_read_b32 v14, a11
	v_lshl_add_u32 v14, v14, 3, 0
	v_add_u32_e32 v15, 0x1800, v14
	ds_write2_b64 v3, v[108:109], v[112:113] offset1:77
	ds_write2_b64 v3, v[132:133], v[130:131] offset0:154 offset1:231
	ds_write_b64 v3, v[110:111] offset:2464
	ds_write2_b64 v15, v[144:145], v[148:149] offset0:2 offset1:79
	ds_write2_b64 v15, v[150:151], v[10:11] offset0:156 offset1:233
	ds_write_b64 v14, v[146:147] offset:8624
	v_accvgpr_read_b32 v10, a19
	v_accvgpr_read_b32 v11, a20
	v_mul_u32_u24_e32 v10, 0xc08, v10
	v_lshlrev_b32_e32 v11, 3, v11
	v_add3_u32 v10, 0, v10, v11
	v_accvgpr_read_b32 v11, a18
	v_accvgpr_read_b32 v20, a21
	v_add_f64 v[104:105], v[104:105], v[106:107]
	v_mul_u32_u24_e32 v11, 0xc08, v11
	v_lshlrev_b32_e32 v20, 3, v20
	v_fmac_f64_e32 v[6:7], s[12:13], v[104:105]
	v_add3_u32 v11, 0, v11, v20
	v_fmac_f64_e32 v[102:103], s[12:13], v[104:105]
	ds_write2_b64 v10, v[124:125], v[136:137] offset1:77
	ds_write2_b64 v10, v[152:153], v[138:139] offset0:154 offset1:231
	ds_write_b64 v10, v[126:127] offset:2464
	ds_write2_b64 v11, v[82:83], v[90:91] offset1:77
	ds_write2_b64 v11, v[102:103], v[6:7] offset0:154 offset1:231
	ds_write_b64 v11, v[84:85] offset:2464
	v_accvgpr_read_b32 v6, a22
	v_add_f64 v[74:75], v[74:75], v[76:77]
	v_lshl_add_u32 v6, v6, 3, 0
	v_fmac_f64_e32 v[0:1], s[12:13], v[74:75]
	v_add_u32_e32 v7, 0x3000, v6
	v_fmac_f64_e32 v[72:73], s[12:13], v[74:75]
	ds_write2_b64 v7, v[40:41], v[62:63] offset0:4 offset1:81
	ds_write2_b64 v7, v[72:73], v[0:1] offset0:158 offset1:235
	ds_write_b64 v6, v[42:43] offset:14784
	v_accvgpr_read_b32 v40, a16
	v_accvgpr_read_b32 v0, a14
	;; [unrolled: 1-line block ×4, first 2 shown]
	s_waitcnt lgkmcnt(0)
	; wave barrier
	s_waitcnt lgkmcnt(0)
	ds_read2_b64 v[20:23], v191 offset1:55
	ds_read2_b64 v[32:35], v40 offset0:74 offset1:129
	ds_read2_b64 v[28:31], v0 offset0:2 offset1:57
	;; [unrolled: 1-line block ×11, first 2 shown]
	v_accvgpr_read_b32 v0, a25
	ds_read2_b64 v[102:105], v0 offset0:92 offset1:147
	v_accvgpr_read_b32 v0, a24
	ds_read2_b64 v[86:89], v0 offset0:94 offset1:149
	;; [unrolled: 2-line block ×3, first 2 shown]
	ds_read2_b64 v[62:65], v166 offset0:148 offset1:203
	ds_read2_b64 v[58:61], v195 offset0:150 offset1:205
	ds_read_b64 v[0:1], v191 offset:14960
	v_add_f64 v[12:13], v[12:13], v[174:175]
	s_waitcnt lgkmcnt(0)
	; wave barrier
	s_waitcnt lgkmcnt(0)
	ds_write2_b64 v191, v[12:13], v[66:67] offset1:77
	ds_write2_b64 v191, v[70:71], v[68:69] offset0:154 offset1:231
	ds_write_b64 v191, v[18:19] offset:2464
	ds_write2_b64 v2, v[94:95], v[98:99] offset1:77
	ds_write2_b64 v2, v[100:101], v[48:49] offset0:154 offset1:231
	ds_write_b64 v2, v[96:97] offset:2464
	ds_write2_b64 v3, v[8:9], v[116:117] offset1:77
	ds_write2_b64 v3, v[122:123], v[50:51] offset0:154 offset1:231
	ds_write_b64 v3, v[114:115] offset:2464
	ds_write2_b64 v15, v[140:141], v[128:129] offset0:2 offset1:79
	ds_write2_b64 v15, v[134:135], v[52:53] offset0:156 offset1:233
	ds_write_b64 v14, v[142:143] offset:8624
	ds_write2_b64 v10, v[4:5], v[120:121] offset1:77
	ds_write2_b64 v10, v[154:155], v[54:55] offset0:154 offset1:231
	ds_write_b64 v10, v[118:119] offset:2464
	ds_write2_b64 v11, v[156:157], v[160:161] offset1:77
	ds_write2_b64 v11, v[162:163], v[56:57] offset0:154 offset1:231
	ds_write_b64 v11, v[158:159] offset:2464
	ds_write2_b64 v7, v[164:165], v[170:171] offset0:4 offset1:81
	ds_write2_b64 v7, v[172:173], v[16:17] offset0:158 offset1:235
	ds_write_b64 v6, v[168:169] offset:14784
	s_waitcnt lgkmcnt(0)
	; wave barrier
	s_waitcnt lgkmcnt(0)
	s_and_saveexec_b64 s[0:1], vcc
	s_cbranch_execz .LBB0_23
; %bb.22:
	v_accvgpr_read_b32 v2, a7
	v_lshlrev_b32_e32 v166, 2, v2
	v_lshl_add_u64 v[10:11], v[166:167], 4, s[8:9]
	s_mov_b64 s[0:1], 0x17a0
	v_lshl_add_u64 v[18:19], v[10:11], 0, s[0:1]
	v_add_co_u32_e32 v48, vcc, 0x1000, v10
	global_load_dwordx4 v[2:5], v[18:19], off offset:32
	global_load_dwordx4 v[6:9], v[18:19], off offset:16
	v_addc_co_u32_e32 v49, vcc, 0, v11, vcc
	global_load_dwordx4 v[10:13], v[48:49], off offset:1952
	global_load_dwordx4 v[14:17], v[18:19], off offset:48
	v_accvgpr_read_b32 v56, a6
	v_mul_lo_u32 v48, s3, v226
	v_mul_lo_u32 v49, s2, v227
	v_mad_u64_u32 v[158:159], s[2:3], s2, v226, 0
	v_lshlrev_b32_e32 v166, 2, v56
	s_movk_i32 s2, 0x1000
	v_lshl_add_u64 v[56:57], v[166:167], 4, s[8:9]
	v_lshl_add_u64 v[94:95], v[56:57], 0, s[0:1]
	v_add_co_u32_e32 v56, vcc, s2, v56
	v_add_u32_e32 v150, 0x2000, v191
	v_add_u32_e32 v136, 0x1000, v191
	v_addc_co_u32_e32 v57, vcc, 0, v57, vcc
	v_add_u32_e32 v137, 0x2800, v191
	ds_read_b64 v[18:19], v191 offset:14960
	v_add_u32_e32 v151, 0x800, v191
	v_add3_u32 v159, v159, v49, v48
	ds_read2_b64 v[48:51], v150 offset0:76 offset1:131
	ds_read2_b64 v[52:55], v137 offset0:150 offset1:205
	global_load_dwordx4 v[66:69], v[94:95], off offset:32
	global_load_dwordx4 v[98:101], v[94:95], off offset:16
	global_load_dwordx4 v[118:121], v[56:57], off offset:1952
	ds_read2_b64 v[122:125], v136 offset0:148 offset1:203
	ds_read2_b64 v[70:73], v151 offset0:74 offset1:129
	global_load_dwordx4 v[114:117], v[94:95], off offset:48
	v_add_u32_e32 v182, 0x1800, v191
	v_add_u32_e32 v186, 0x3000, v191
	s_movk_i32 s3, 0x3000
	s_waitcnt vmcnt(7) lgkmcnt(2)
	v_mul_f64 v[94:95], v[2:3], v[54:55]
	s_waitcnt vmcnt(6)
	v_mul_f64 v[56:57], v[6:7], v[48:49]
	v_mul_f64 v[48:49], v[8:9], v[48:49]
	;; [unrolled: 1-line block ×3, first 2 shown]
	v_fmac_f64_e32 v[56:57], v[24:25], v[8:9]
	s_waitcnt vmcnt(5) lgkmcnt(1)
	v_mul_f64 v[96:97], v[10:11], v[124:125]
	v_fmac_f64_e32 v[94:95], v[60:61], v[4:5]
	s_waitcnt vmcnt(4)
	v_mul_f64 v[126:127], v[14:15], v[18:19]
	v_mul_f64 v[4:5], v[12:13], v[124:125]
	;; [unrolled: 1-line block ×3, first 2 shown]
	v_fma_f64 v[24:25], v[24:25], v[6:7], -v[48:49]
	v_fma_f64 v[48:49], v[60:61], v[2:3], -v[54:55]
	v_fmac_f64_e32 v[96:97], v[64:65], v[12:13]
	v_fmac_f64_e32 v[126:127], v[0:1], v[16:17]
	v_fma_f64 v[16:17], v[64:65], v[10:11], -v[4:5]
	v_fma_f64 v[54:55], v[0:1], v[14:15], -v[8:9]
	v_add_f64 v[2:3], v[56:57], v[94:95]
	v_add_f64 v[4:5], v[56:57], -v[96:97]
	v_add_f64 v[6:7], v[94:95], -v[126:127]
	;; [unrolled: 1-line block ×3, first 2 shown]
	v_add_f64 v[8:9], v[96:97], v[126:127]
	s_waitcnt lgkmcnt(0)
	v_fma_f64 v[14:15], -0.5, v[2:3], v[70:71]
	v_add_f64 v[124:125], v[96:97], v[70:71]
	v_add_f64 v[0:1], v[24:25], -v[48:49]
	v_add_f64 v[18:19], v[96:97], -v[56:57]
	;; [unrolled: 1-line block ×3, first 2 shown]
	v_add_f64 v[132:133], v[16:17], v[54:55]
	v_add_f64 v[134:135], v[4:5], v[6:7]
	v_fma_f64 v[10:11], -0.5, v[8:9], v[70:71]
	v_fma_f64 v[2:3], s[4:5], v[12:13], v[14:15]
	v_fmac_f64_e32 v[14:15], s[14:15], v[12:13]
	v_add_f64 v[4:5], v[56:57], v[124:125]
	v_add_f64 v[60:61], v[56:57], -v[94:95]
	v_add_f64 v[18:19], v[18:19], v[64:65]
	v_fma_f64 v[8:9], -0.5, v[132:133], v[32:33]
	v_fma_f64 v[6:7], s[14:15], v[0:1], v[10:11]
	v_fmac_f64_e32 v[10:11], s[4:5], v[0:1]
	v_fmac_f64_e32 v[2:3], s[10:11], v[0:1]
	;; [unrolled: 1-line block ×3, first 2 shown]
	v_add_f64 v[0:1], v[94:95], v[4:5]
	v_add_f64 v[128:129], v[24:25], -v[16:17]
	v_add_f64 v[130:131], v[48:49], -v[54:55]
	v_fma_f64 v[4:5], s[4:5], v[60:61], v[8:9]
	v_fmac_f64_e32 v[2:3], s[12:13], v[18:19]
	v_fmac_f64_e32 v[14:15], s[12:13], v[18:19]
	v_add_f64 v[18:19], v[126:127], v[0:1]
	v_add_f64 v[64:65], v[96:97], -v[126:127]
	v_fmac_f64_e32 v[8:9], s[14:15], v[60:61]
	v_add_f64 v[0:1], v[16:17], -v[24:25]
	v_add_f64 v[16:17], v[32:33], v[16:17]
	v_add_f64 v[56:57], v[128:129], v[130:131]
	v_fmac_f64_e32 v[6:7], s[10:11], v[12:13]
	v_fmac_f64_e32 v[10:11], s[16:17], v[12:13]
	;; [unrolled: 1-line block ×4, first 2 shown]
	v_add_f64 v[12:13], v[54:55], -v[48:49]
	v_add_f64 v[16:17], v[24:25], v[16:17]
	v_fmac_f64_e32 v[4:5], s[12:13], v[56:57]
	v_fmac_f64_e32 v[8:9], s[12:13], v[56:57]
	v_add_f64 v[56:57], v[0:1], v[12:13]
	v_add_f64 v[0:1], v[24:25], v[48:49]
	;; [unrolled: 1-line block ×3, first 2 shown]
	v_accvgpr_read_b32 v48, a3
	v_fma_f64 v[12:13], -0.5, v[0:1], v[32:33]
	v_lshlrev_b32_e32 v166, 2, v48
	v_fma_f64 v[0:1], s[14:15], v[64:65], v[12:13]
	v_fmac_f64_e32 v[12:13], s[4:5], v[64:65]
	v_lshl_add_u64 v[48:49], v[166:167], 4, s[8:9]
	v_fmac_f64_e32 v[0:1], s[16:17], v[60:61]
	v_fmac_f64_e32 v[12:13], s[10:11], v[60:61]
	v_add_f64 v[16:17], v[16:17], v[54:55]
	v_lshl_add_u64 v[54:55], v[48:49], 0, s[0:1]
	v_add_co_u32_e32 v48, vcc, s2, v48
	v_fmac_f64_e32 v[0:1], s[12:13], v[56:57]
	v_fmac_f64_e32 v[12:13], s[12:13], v[56:57]
	v_add_u32_e32 v56, 0x1c00, v191
	v_addc_co_u32_e32 v49, vcc, 0, v49, vcc
	ds_read2_b64 v[94:97], v56 offset0:94 offset1:149
	global_load_dwordx4 v[126:129], v[54:55], off offset:32
	global_load_dwordx4 v[138:141], v[54:55], off offset:16
	;; [unrolled: 1-line block ×4, first 2 shown]
	v_add_u32_e32 v60, 0x3400, v191
	ds_read2_b64 v[142:145], v60 offset0:96 offset1:151
	s_waitcnt vmcnt(6) lgkmcnt(1)
	v_mul_f64 v[24:25], v[98:99], v[96:97]
	s_waitcnt vmcnt(5)
	v_mul_f64 v[32:33], v[118:119], v[122:123]
	v_mul_f64 v[48:49], v[66:67], v[52:53]
	v_fmac_f64_e32 v[24:25], v[88:89], v[100:101]
	s_waitcnt vmcnt(4) lgkmcnt(0)
	v_mul_f64 v[64:65], v[114:115], v[144:145]
	v_fmac_f64_e32 v[32:33], v[62:63], v[120:121]
	v_fmac_f64_e32 v[48:49], v[58:59], v[68:69]
	;; [unrolled: 1-line block ×3, first 2 shown]
	v_add_f64 v[56:57], v[24:25], -v[32:33]
	v_add_f64 v[54:55], v[48:49], -v[64:65]
	v_add_f64 v[56:57], v[56:57], v[54:55]
	v_mul_f64 v[54:55], v[120:121], v[122:123]
	v_fma_f64 v[118:119], v[62:63], v[118:119], -v[54:55]
	v_add_u32_e32 v54, 0x400, v191
	ds_read2_b64 v[130:133], v54 offset0:92 offset1:147
	v_mul_f64 v[54:55], v[116:117], v[144:145]
	v_fma_f64 v[92:93], v[92:93], v[114:115], -v[54:55]
	v_add_f64 v[54:55], v[32:33], v[64:65]
	v_mul_f64 v[52:53], v[68:69], v[52:53]
	s_waitcnt lgkmcnt(0)
	v_fma_f64 v[62:63], -0.5, v[54:55], v[132:133]
	v_mul_f64 v[54:55], v[100:101], v[96:97]
	v_fma_f64 v[88:89], v[88:89], v[98:99], -v[54:55]
	v_fma_f64 v[68:69], v[58:59], v[66:67], -v[52:53]
	v_add_f64 v[52:53], v[88:89], -v[68:69]
	v_add_f64 v[60:61], v[118:119], -v[92:93]
	v_fma_f64 v[54:55], s[14:15], v[52:53], v[62:63]
	v_fmac_f64_e32 v[62:63], s[4:5], v[52:53]
	v_fmac_f64_e32 v[54:55], s[10:11], v[60:61]
	;; [unrolled: 1-line block ×5, first 2 shown]
	v_add_f64 v[56:57], v[32:33], -v[24:25]
	v_add_f64 v[58:59], v[64:65], -v[48:49]
	v_add_f64 v[56:57], v[56:57], v[58:59]
	v_add_f64 v[58:59], v[24:25], v[48:49]
	v_fma_f64 v[66:67], -0.5, v[58:59], v[132:133]
	v_fma_f64 v[58:59], s[4:5], v[60:61], v[66:67]
	v_fmac_f64_e32 v[66:67], s[14:15], v[60:61]
	v_fmac_f64_e32 v[58:59], s[10:11], v[52:53]
	;; [unrolled: 1-line block ×3, first 2 shown]
	v_add_f64 v[52:53], v[32:33], v[132:133]
	v_add_f64 v[52:53], v[24:25], v[52:53]
	;; [unrolled: 1-line block ×3, first 2 shown]
	v_fmac_f64_e32 v[58:59], s[12:13], v[56:57]
	v_fmac_f64_e32 v[66:67], s[12:13], v[56:57]
	v_add_f64 v[70:71], v[64:65], v[52:53]
	v_add_f64 v[52:53], v[88:89], -v[118:119]
	v_add_f64 v[56:57], v[68:69], -v[92:93]
	v_add_f64 v[56:57], v[52:53], v[56:57]
	v_add_f64 v[52:53], v[118:119], v[92:93]
	v_fma_f64 v[60:61], -0.5, v[52:53], v[104:105]
	v_add_f64 v[24:25], v[24:25], -v[48:49]
	v_fma_f64 v[52:53], s[4:5], v[24:25], v[60:61]
	v_add_f64 v[32:33], v[32:33], -v[64:65]
	v_fmac_f64_e32 v[60:61], s[14:15], v[24:25]
	v_fmac_f64_e32 v[52:53], s[16:17], v[32:33]
	;; [unrolled: 1-line block ×5, first 2 shown]
	v_add_f64 v[48:49], v[118:119], -v[88:89]
	v_add_f64 v[56:57], v[92:93], -v[68:69]
	v_add_f64 v[48:49], v[48:49], v[56:57]
	v_add_f64 v[56:57], v[88:89], v[68:69]
	v_fma_f64 v[64:65], -0.5, v[56:57], v[104:105]
	v_fma_f64 v[56:57], s[14:15], v[32:33], v[64:65]
	v_fmac_f64_e32 v[64:65], s[4:5], v[32:33]
	v_fmac_f64_e32 v[56:57], s[16:17], v[24:25]
	;; [unrolled: 1-line block ×3, first 2 shown]
	v_add_f64 v[24:25], v[104:105], v[118:119]
	ds_read2_b64 v[118:121], v136 offset0:38 offset1:93
	ds_read2_b64 v[114:117], v137 offset0:40 offset1:95
	v_accvgpr_read_b32 v32, a4
	v_add_f64 v[24:25], v[88:89], v[24:25]
	v_lshlrev_b32_e32 v166, 2, v32
	v_add_f64 v[24:25], v[24:25], v[68:69]
	v_lshl_add_u64 v[32:33], v[166:167], 4, s[8:9]
	v_fmac_f64_e32 v[56:57], s[12:13], v[48:49]
	v_fmac_f64_e32 v[64:65], s[12:13], v[48:49]
	v_add_f64 v[68:69], v[24:25], v[92:93]
	s_waitcnt vmcnt(2)
	v_mul_f64 v[24:25], v[138:139], v[94:95]
	v_lshl_add_u64 v[48:49], v[32:33], 0, s[0:1]
	s_waitcnt vmcnt(1) lgkmcnt(1)
	v_mul_f64 v[98:99], v[146:147], v[120:121]
	s_waitcnt lgkmcnt(0)
	v_mul_f64 v[132:133], v[126:127], v[116:117]
	s_waitcnt vmcnt(0)
	v_mul_f64 v[144:145], v[152:153], v[142:143]
	v_add_co_u32_e32 v32, vcc, s2, v32
	v_fmac_f64_e32 v[24:25], v[86:87], v[140:141]
	v_fmac_f64_e32 v[98:99], v[112:113], v[148:149]
	v_fmac_f64_e32 v[132:133], v[108:109], v[128:129]
	v_addc_co_u32_e32 v33, vcc, 0, v33, vcc
	v_fmac_f64_e32 v[144:145], v[90:91], v[154:155]
	v_fmac_f64_e32 v[6:7], s[12:13], v[134:135]
	;; [unrolled: 1-line block ×3, first 2 shown]
	global_load_dwordx4 v[122:125], v[48:49], off offset:32
	global_load_dwordx4 v[134:137], v[48:49], off offset:16
	v_add_f64 v[88:89], v[24:25], -v[98:99]
	global_load_dwordx4 v[160:163], v[32:33], off offset:1952
	v_add_f64 v[32:33], v[132:133], -v[144:145]
	v_add_f64 v[32:33], v[88:89], v[32:33]
	v_mul_f64 v[88:89], v[148:149], v[120:121]
	v_fma_f64 v[112:113], v[112:113], v[146:147], -v[88:89]
	v_mul_f64 v[88:89], v[154:155], v[142:143]
	v_fma_f64 v[120:121], v[90:91], v[152:153], -v[88:89]
	global_load_dwordx4 v[152:155], v[48:49], off offset:48
	v_add_f64 v[88:89], v[98:99], v[144:145]
	v_fma_f64 v[96:97], -0.5, v[88:89], v[130:131]
	v_mul_f64 v[88:89], v[140:141], v[94:95]
	v_fma_f64 v[138:139], v[86:87], v[138:139], -v[88:89]
	v_mul_f64 v[86:87], v[128:129], v[116:117]
	v_fma_f64 v[108:109], v[108:109], v[126:127], -v[86:87]
	v_add_f64 v[86:87], v[138:139], -v[108:109]
	v_add_f64 v[48:49], v[112:113], -v[120:121]
	v_fma_f64 v[88:89], s[14:15], v[86:87], v[96:97]
	v_fmac_f64_e32 v[96:97], s[4:5], v[86:87]
	v_fmac_f64_e32 v[88:89], s[10:11], v[48:49]
	;; [unrolled: 1-line block ×5, first 2 shown]
	v_add_f64 v[32:33], v[98:99], -v[24:25]
	v_add_f64 v[90:91], v[144:145], -v[132:133]
	v_add_f64 v[32:33], v[32:33], v[90:91]
	v_add_f64 v[90:91], v[24:25], v[132:133]
	v_fma_f64 v[100:101], -0.5, v[90:91], v[130:131]
	v_fma_f64 v[92:93], s[4:5], v[48:49], v[100:101]
	v_fmac_f64_e32 v[100:101], s[14:15], v[48:49]
	v_fmac_f64_e32 v[92:93], s[10:11], v[86:87]
	;; [unrolled: 1-line block ×5, first 2 shown]
	v_add_f64 v[32:33], v[98:99], v[130:131]
	v_add_f64 v[32:33], v[24:25], v[32:33]
	;; [unrolled: 1-line block ×4, first 2 shown]
	v_add_f64 v[32:33], v[138:139], -v[112:113]
	v_add_f64 v[48:49], v[108:109], -v[120:121]
	v_add_f64 v[32:33], v[32:33], v[48:49]
	v_add_f64 v[48:49], v[112:113], v[120:121]
	v_fma_f64 v[94:95], -0.5, v[48:49], v[102:103]
	v_add_f64 v[24:25], v[24:25], -v[132:133]
	v_fma_f64 v[86:87], s[4:5], v[24:25], v[94:95]
	v_add_f64 v[48:49], v[98:99], -v[144:145]
	v_fmac_f64_e32 v[94:95], s[14:15], v[24:25]
	v_fmac_f64_e32 v[86:87], s[16:17], v[48:49]
	;; [unrolled: 1-line block ×5, first 2 shown]
	v_add_f64 v[32:33], v[112:113], -v[138:139]
	v_add_f64 v[90:91], v[120:121], -v[108:109]
	v_add_f64 v[32:33], v[32:33], v[90:91]
	v_add_f64 v[90:91], v[138:139], v[108:109]
	v_fma_f64 v[98:99], -0.5, v[90:91], v[102:103]
	v_fma_f64 v[90:91], s[14:15], v[48:49], v[98:99]
	v_fmac_f64_e32 v[98:99], s[4:5], v[48:49]
	v_fmac_f64_e32 v[90:91], s[16:17], v[24:25]
	v_fmac_f64_e32 v[98:99], s[10:11], v[24:25]
	v_fmac_f64_e32 v[90:91], s[12:13], v[32:33]
	v_fmac_f64_e32 v[98:99], s[12:13], v[32:33]
	v_accvgpr_read_b32 v32, a5
	v_lshlrev_b32_e32 v166, 2, v32
	v_lshl_add_u64 v[32:33], v[166:167], 4, s[8:9]
	v_lshl_add_u64 v[48:49], v[32:33], 0, s[0:1]
	ds_read2_b64 v[126:129], v182 offset0:112 offset1:167
	global_load_dwordx4 v[130:133], v[48:49], off offset:32
	global_load_dwordx4 v[146:149], v[48:49], off offset:16
	ds_read2_b64 v[172:175], v186 offset0:114 offset1:169
	v_add_f64 v[24:25], v[102:103], v[112:113]
	v_add_f64 v[24:25], v[138:139], v[24:25]
	v_add_co_u32_e32 v32, vcc, s2, v32
	v_add_f64 v[24:25], v[24:25], v[108:109]
	s_nop 0
	v_addc_co_u32_e32 v33, vcc, 0, v33, vcc
	v_add_f64 v[102:103], v[24:25], v[120:121]
	global_load_dwordx4 v[168:171], v[32:33], off offset:1952
	s_waitcnt vmcnt(6)
	v_mul_f64 v[138:139], v[122:123], v[114:115]
	s_waitcnt vmcnt(5) lgkmcnt(1)
	v_mul_f64 v[24:25], v[134:135], v[128:129]
	v_fmac_f64_e32 v[24:25], v[80:81], v[136:137]
	s_waitcnt vmcnt(4)
	v_mul_f64 v[32:33], v[160:161], v[118:119]
	v_fmac_f64_e32 v[32:33], v[110:111], v[162:163]
	v_fmac_f64_e32 v[138:139], v[106:107], v[124:125]
	v_add_f64 v[108:109], v[24:25], -v[32:33]
	ds_read2_b64 v[142:145], v191 offset0:110 offset1:165
	s_waitcnt vmcnt(3) lgkmcnt(1)
	v_mul_f64 v[140:141], v[152:153], v[174:175]
	v_fmac_f64_e32 v[140:141], v[84:85], v[154:155]
	v_add_f64 v[112:113], v[138:139], -v[140:141]
	v_add_f64 v[112:113], v[108:109], v[112:113]
	v_mul_f64 v[108:109], v[162:163], v[118:119]
	v_fma_f64 v[156:157], v[110:111], v[160:161], -v[108:109]
	global_load_dwordx4 v[160:163], v[48:49], off offset:48
	v_add_f64 v[108:109], v[32:33], v[140:141]
	s_waitcnt lgkmcnt(0)
	v_fma_f64 v[116:117], -0.5, v[108:109], v[144:145]
	v_mul_f64 v[108:109], v[136:137], v[128:129]
	v_fma_f64 v[80:81], v[80:81], v[134:135], -v[108:109]
	v_mul_f64 v[108:109], v[124:125], v[114:115]
	v_mul_f64 v[48:49], v[154:155], v[174:175]
	v_fma_f64 v[122:123], v[106:107], v[122:123], -v[108:109]
	v_fma_f64 v[48:49], v[84:85], v[152:153], -v[48:49]
	v_add_f64 v[106:107], v[80:81], -v[122:123]
	v_add_f64 v[84:85], v[156:157], -v[48:49]
	v_fma_f64 v[108:109], s[14:15], v[106:107], v[116:117]
	v_fmac_f64_e32 v[116:117], s[4:5], v[106:107]
	v_fmac_f64_e32 v[108:109], s[10:11], v[84:85]
	;; [unrolled: 1-line block ×5, first 2 shown]
	v_add_f64 v[110:111], v[32:33], -v[24:25]
	v_add_f64 v[112:113], v[140:141], -v[138:139]
	v_add_f64 v[110:111], v[110:111], v[112:113]
	v_add_f64 v[112:113], v[24:25], v[138:139]
	v_fma_f64 v[120:121], -0.5, v[112:113], v[144:145]
	v_fma_f64 v[112:113], s[4:5], v[84:85], v[120:121]
	v_fmac_f64_e32 v[120:121], s[14:15], v[84:85]
	v_add_f64 v[84:85], v[32:33], v[144:145]
	v_add_f64 v[84:85], v[24:25], v[84:85]
	;; [unrolled: 1-line block ×3, first 2 shown]
	v_fmac_f64_e32 v[112:113], s[10:11], v[106:107]
	v_fmac_f64_e32 v[120:121], s[16:17], v[106:107]
	v_add_f64 v[124:125], v[140:141], v[84:85]
	v_add_f64 v[84:85], v[80:81], -v[156:157]
	v_add_f64 v[106:107], v[122:123], -v[48:49]
	v_add_f64 v[84:85], v[84:85], v[106:107]
	v_add_f64 v[106:107], v[156:157], v[48:49]
	v_fma_f64 v[114:115], -0.5, v[106:107], v[76:77]
	v_add_f64 v[24:25], v[24:25], -v[138:139]
	v_fma_f64 v[106:107], s[4:5], v[24:25], v[114:115]
	v_add_f64 v[32:33], v[32:33], -v[140:141]
	v_fmac_f64_e32 v[114:115], s[14:15], v[24:25]
	v_fmac_f64_e32 v[106:107], s[16:17], v[32:33]
	;; [unrolled: 1-line block ×7, first 2 shown]
	v_add_f64 v[84:85], v[156:157], -v[80:81]
	v_add_f64 v[110:111], v[48:49], -v[122:123]
	v_add_f64 v[84:85], v[84:85], v[110:111]
	v_add_f64 v[110:111], v[80:81], v[122:123]
	v_fma_f64 v[118:119], -0.5, v[110:111], v[76:77]
	v_fma_f64 v[110:111], s[14:15], v[32:33], v[118:119]
	v_fmac_f64_e32 v[118:119], s[4:5], v[32:33]
	ds_read2_b64 v[138:141], v151 offset0:184 offset1:239
	ds_read2_b64 v[134:137], v150 offset0:186 offset1:241
	v_fmac_f64_e32 v[110:111], s[16:17], v[24:25]
	v_fmac_f64_e32 v[118:119], s[10:11], v[24:25]
	v_add_f64 v[24:25], v[76:77], v[156:157]
	v_add_f64 v[24:25], v[80:81], v[24:25]
	v_accvgpr_read_b32 v80, a2
	v_lshlrev_b32_e32 v166, 2, v80
	v_add_f64 v[24:25], v[24:25], v[122:123]
	v_lshl_add_u64 v[80:81], v[166:167], 4, s[8:9]
	v_fmac_f64_e32 v[110:111], s[12:13], v[84:85]
	v_fmac_f64_e32 v[118:119], s[12:13], v[84:85]
	v_add_f64 v[122:123], v[24:25], v[48:49]
	s_waitcnt vmcnt(2)
	v_mul_f64 v[24:25], v[146:147], v[126:127]
	s_waitcnt vmcnt(1) lgkmcnt(1)
	v_mul_f64 v[32:33], v[168:169], v[140:141]
	s_waitcnt lgkmcnt(0)
	v_mul_f64 v[76:77], v[130:131], v[136:137]
	v_lshl_add_u64 v[84:85], v[80:81], 0, s[0:1]
	v_add_co_u32_e32 v80, vcc, s2, v80
	v_fmac_f64_e32 v[24:25], v[78:79], v[148:149]
	v_fmac_f64_e32 v[32:33], v[46:47], v[170:171]
	v_addc_co_u32_e32 v81, vcc, 0, v81, vcc
	v_fmac_f64_e32 v[76:77], v[42:43], v[132:133]
	v_add_f64 v[48:49], v[24:25], -v[32:33]
	global_load_dwordx4 v[150:153], v[84:85], off offset:32
	global_load_dwordx4 v[154:157], v[84:85], off offset:16
	;; [unrolled: 1-line block ×4, first 2 shown]
	s_waitcnt vmcnt(4)
	v_mul_f64 v[144:145], v[160:161], v[172:173]
	v_fmac_f64_e32 v[144:145], v[82:83], v[162:163]
	v_add_f64 v[80:81], v[76:77], -v[144:145]
	v_add_f64 v[80:81], v[48:49], v[80:81]
	v_mul_f64 v[48:49], v[170:171], v[140:141]
	v_fma_f64 v[84:85], v[46:47], v[168:169], -v[48:49]
	v_mul_f64 v[46:47], v[162:163], v[172:173]
	v_add_f64 v[48:49], v[32:33], v[144:145]
	v_fma_f64 v[164:165], v[82:83], v[160:161], -v[46:47]
	v_fma_f64 v[82:83], -0.5, v[48:49], v[142:143]
	v_mul_f64 v[48:49], v[148:149], v[126:127]
	v_fma_f64 v[140:141], v[78:79], v[146:147], -v[48:49]
	v_mul_f64 v[48:49], v[132:133], v[136:137]
	v_fma_f64 v[42:43], v[42:43], v[130:131], -v[48:49]
	v_add_f64 v[126:127], v[140:141], -v[42:43]
	v_add_f64 v[46:47], v[84:85], -v[164:165]
	v_fma_f64 v[48:49], s[14:15], v[126:127], v[82:83]
	v_fmac_f64_e32 v[82:83], s[4:5], v[126:127]
	v_fmac_f64_e32 v[48:49], s[10:11], v[46:47]
	;; [unrolled: 1-line block ×5, first 2 shown]
	v_add_f64 v[78:79], v[32:33], -v[24:25]
	v_add_f64 v[80:81], v[144:145], -v[76:77]
	v_add_f64 v[80:81], v[78:79], v[80:81]
	v_add_f64 v[78:79], v[24:25], v[76:77]
	v_fma_f64 v[128:129], -0.5, v[78:79], v[142:143]
	v_fma_f64 v[78:79], s[4:5], v[46:47], v[128:129]
	v_fmac_f64_e32 v[128:129], s[14:15], v[46:47]
	v_add_f64 v[46:47], v[32:33], v[142:143]
	v_add_f64 v[46:47], v[24:25], v[46:47]
	v_fmac_f64_e32 v[78:79], s[10:11], v[126:127]
	v_fmac_f64_e32 v[128:129], s[16:17], v[126:127]
	v_add_f64 v[46:47], v[76:77], v[46:47]
	v_fmac_f64_e32 v[78:79], s[12:13], v[80:81]
	v_fmac_f64_e32 v[128:129], s[12:13], v[80:81]
	v_add_f64 v[132:133], v[144:145], v[46:47]
	v_add_f64 v[46:47], v[140:141], -v[84:85]
	v_add_f64 v[80:81], v[42:43], -v[164:165]
	v_add_f64 v[126:127], v[46:47], v[80:81]
	v_add_f64 v[46:47], v[84:85], v[164:165]
	v_fma_f64 v[80:81], -0.5, v[46:47], v[74:75]
	v_add_f64 v[24:25], v[24:25], -v[76:77]
	v_fma_f64 v[46:47], s[4:5], v[24:25], v[80:81]
	v_add_f64 v[32:33], v[32:33], -v[144:145]
	v_fmac_f64_e32 v[80:81], s[14:15], v[24:25]
	v_fmac_f64_e32 v[46:47], s[16:17], v[32:33]
	;; [unrolled: 1-line block ×5, first 2 shown]
	v_add_f64 v[76:77], v[84:85], -v[140:141]
	v_add_f64 v[126:127], v[164:165], -v[42:43]
	v_add_f64 v[130:131], v[76:77], v[126:127]
	v_add_f64 v[76:77], v[140:141], v[42:43]
	v_fma_f64 v[126:127], -0.5, v[76:77], v[74:75]
	v_fma_f64 v[76:77], s[14:15], v[32:33], v[126:127]
	v_fmac_f64_e32 v[126:127], s[4:5], v[32:33]
	v_fmac_f64_e32 v[76:77], s[16:17], v[24:25]
	;; [unrolled: 1-line block ×3, first 2 shown]
	v_add_f64 v[24:25], v[74:75], v[84:85]
	v_accvgpr_read_b32 v75, a1
	v_accvgpr_read_b32 v74, a0
	v_lshl_add_u64 v[32:33], v[74:75], 0, s[0:1]
	v_add_co_u32_e32 v74, vcc, s2, v74
	v_add_f64 v[24:25], v[140:141], v[24:25]
	s_nop 0
	v_addc_co_u32_e32 v75, vcc, 0, v75, vcc
	ds_read2_b64 v[140:143], v182 offset0:2 offset1:57
	global_load_dwordx4 v[144:147], v[32:33], off offset:32
	global_load_dwordx4 v[160:163], v[32:33], off offset:16
	;; [unrolled: 1-line block ×4, first 2 shown]
	ds_read2_b64 v[186:189], v186 offset0:4 offset1:59
	v_add_f64 v[24:25], v[24:25], v[42:43]
	v_fmac_f64_e32 v[76:77], s[12:13], v[130:131]
	v_fmac_f64_e32 v[126:127], s[12:13], v[130:131]
	v_add_f64 v[130:131], v[24:25], v[164:165]
	s_waitcnt vmcnt(6) lgkmcnt(1)
	v_mul_f64 v[74:75], v[154:155], v[142:143]
	s_waitcnt vmcnt(5)
	v_mul_f64 v[84:85], v[174:175], v[138:139]
	v_mul_f64 v[148:149], v[150:151], v[134:135]
	s_waitcnt vmcnt(4) lgkmcnt(0)
	v_mul_f64 v[164:165], v[178:179], v[188:189]
	v_fmac_f64_e32 v[74:75], v[30:31], v[156:157]
	v_fmac_f64_e32 v[84:85], v[44:45], v[176:177]
	;; [unrolled: 1-line block ×4, first 2 shown]
	v_add_f64 v[24:25], v[74:75], -v[84:85]
	v_add_f64 v[32:33], v[148:149], -v[164:165]
	v_add_f64 v[24:25], v[24:25], v[32:33]
	v_mul_f64 v[32:33], v[176:177], v[138:139]
	ds_read2_b64 v[136:139], v191 offset1:55
	v_fma_f64 v[172:173], v[44:45], v[174:175], -v[32:33]
	v_mul_f64 v[32:33], v[180:181], v[188:189]
	v_fma_f64 v[174:175], v[38:39], v[178:179], -v[32:33]
	v_add_f64 v[32:33], v[84:85], v[164:165]
	s_waitcnt lgkmcnt(0)
	v_fma_f64 v[44:45], -0.5, v[32:33], v[138:139]
	v_mul_f64 v[32:33], v[156:157], v[142:143]
	v_fma_f64 v[142:143], v[30:31], v[154:155], -v[32:33]
	v_mul_f64 v[30:31], v[152:153], v[134:135]
	v_fma_f64 v[134:135], v[40:41], v[150:151], -v[30:31]
	v_add_f64 v[30:31], v[142:143], -v[134:135]
	v_add_f64 v[38:39], v[172:173], -v[174:175]
	v_fma_f64 v[32:33], s[14:15], v[30:31], v[44:45]
	v_fmac_f64_e32 v[44:45], s[4:5], v[30:31]
	v_fmac_f64_e32 v[32:33], s[10:11], v[38:39]
	;; [unrolled: 1-line block ×5, first 2 shown]
	v_add_f64 v[24:25], v[84:85], -v[74:75]
	v_add_f64 v[40:41], v[164:165], -v[148:149]
	v_add_f64 v[24:25], v[24:25], v[40:41]
	v_add_f64 v[40:41], v[74:75], v[148:149]
	v_fma_f64 v[150:151], -0.5, v[40:41], v[138:139]
	v_fma_f64 v[40:41], s[4:5], v[38:39], v[150:151]
	v_fmac_f64_e32 v[150:151], s[14:15], v[38:39]
	v_fmac_f64_e32 v[40:41], s[10:11], v[30:31]
	;; [unrolled: 1-line block ×3, first 2 shown]
	v_add_f64 v[30:31], v[142:143], -v[172:173]
	v_add_f64 v[38:39], v[134:135], -v[174:175]
	v_fmac_f64_e32 v[40:41], s[12:13], v[24:25]
	v_fmac_f64_e32 v[150:151], s[12:13], v[24:25]
	v_add_f64 v[24:25], v[84:85], v[138:139]
	v_add_f64 v[38:39], v[30:31], v[38:39]
	v_add_f64 v[30:31], v[172:173], v[174:175]
	v_add_f64 v[24:25], v[74:75], v[24:25]
	v_fma_f64 v[42:43], -0.5, v[30:31], v[22:23]
	v_add_f64 v[74:75], v[74:75], -v[148:149]
	v_fma_f64 v[30:31], s[4:5], v[74:75], v[42:43]
	v_add_f64 v[84:85], v[84:85], -v[164:165]
	v_fmac_f64_e32 v[42:43], s[14:15], v[74:75]
	v_fmac_f64_e32 v[30:31], s[16:17], v[84:85]
	;; [unrolled: 1-line block ×5, first 2 shown]
	v_add_f64 v[38:39], v[172:173], -v[142:143]
	v_add_f64 v[138:139], v[174:175], -v[134:135]
	v_add_f64 v[138:139], v[38:39], v[138:139]
	v_add_f64 v[38:39], v[142:143], v[134:135]
	;; [unrolled: 1-line block ×3, first 2 shown]
	v_fma_f64 v[148:149], -0.5, v[38:39], v[22:23]
	v_add_f64 v[22:23], v[22:23], v[172:173]
	v_add_f64 v[22:23], v[142:143], v[22:23]
	;; [unrolled: 1-line block ×3, first 2 shown]
	v_fma_f64 v[38:39], s[14:15], v[84:85], v[148:149]
	v_fmac_f64_e32 v[148:149], s[4:5], v[84:85]
	v_add_f64 v[24:25], v[164:165], v[24:25]
	v_fmac_f64_e32 v[38:39], s[16:17], v[74:75]
	v_fmac_f64_e32 v[148:149], s[10:11], v[74:75]
	;; [unrolled: 1-line block ×3, first 2 shown]
	s_waitcnt vmcnt(3)
	v_mul_f64 v[152:153], v[144:145], v[50:51]
	s_waitcnt vmcnt(2)
	v_mul_f64 v[84:85], v[160:161], v[140:141]
	;; [unrolled: 2-line block ×3, first 2 shown]
	v_mul_f64 v[72:73], v[170:171], v[72:73]
	s_waitcnt vmcnt(0)
	v_mul_f64 v[154:155], v[182:183], v[186:187]
	v_fma_f64 v[156:157], v[34:35], v[168:169], -v[72:73]
	v_mul_f64 v[72:73], v[162:163], v[140:141]
	v_fmac_f64_e32 v[84:85], v[28:29], v[162:163]
	v_fmac_f64_e32 v[134:135], v[34:35], v[170:171]
	;; [unrolled: 1-line block ×3, first 2 shown]
	v_mul_f64 v[34:35], v[184:185], v[186:187]
	v_fma_f64 v[140:141], v[28:29], v[160:161], -v[72:73]
	v_mul_f64 v[28:29], v[146:147], v[50:51]
	v_fma_f64 v[164:165], v[36:37], v[182:183], -v[34:35]
	v_add_f64 v[36:37], v[134:135], v[154:155]
	v_fma_f64 v[50:51], v[26:27], v[144:145], -v[28:29]
	v_fmac_f64_e32 v[152:153], v[26:27], v[146:147]
	v_fma_f64 v[36:37], -0.5, v[36:37], v[136:137]
	v_add_f64 v[26:27], v[140:141], -v[50:51]
	v_fmac_f64_e32 v[148:149], s[12:13], v[138:139]
	v_add_f64 v[74:75], v[84:85], -v[134:135]
	v_add_f64 v[138:139], v[152:153], -v[154:155]
	;; [unrolled: 1-line block ×3, first 2 shown]
	v_fma_f64 v[28:29], s[14:15], v[26:27], v[36:37]
	v_fmac_f64_e32 v[36:37], s[4:5], v[26:27]
	v_add_f64 v[74:75], v[74:75], v[138:139]
	v_fmac_f64_e32 v[28:29], s[10:11], v[34:35]
	v_fmac_f64_e32 v[36:37], s[16:17], v[34:35]
	;; [unrolled: 1-line block ×4, first 2 shown]
	v_add_f64 v[72:73], v[134:135], -v[84:85]
	v_add_f64 v[74:75], v[154:155], -v[152:153]
	v_add_f64 v[72:73], v[72:73], v[74:75]
	v_add_f64 v[74:75], v[84:85], v[152:153]
	v_fma_f64 v[74:75], -0.5, v[74:75], v[136:137]
	v_fma_f64 v[138:139], s[4:5], v[34:35], v[74:75]
	v_fmac_f64_e32 v[74:75], s[14:15], v[34:35]
	v_fmac_f64_e32 v[138:139], s[10:11], v[26:27]
	;; [unrolled: 1-line block ×3, first 2 shown]
	v_add_f64 v[26:27], v[134:135], v[136:137]
	v_add_f64 v[26:27], v[84:85], v[26:27]
	;; [unrolled: 1-line block ×4, first 2 shown]
	v_add_f64 v[26:27], v[140:141], -v[156:157]
	v_add_f64 v[34:35], v[50:51], -v[164:165]
	v_fmac_f64_e32 v[138:139], s[12:13], v[72:73]
	v_fmac_f64_e32 v[74:75], s[12:13], v[72:73]
	v_add_f64 v[72:73], v[26:27], v[34:35]
	v_add_f64 v[26:27], v[156:157], v[164:165]
	v_fma_f64 v[34:35], -0.5, v[26:27], v[20:21]
	v_add_f64 v[84:85], v[84:85], -v[152:153]
	v_fma_f64 v[26:27], s[4:5], v[84:85], v[34:35]
	v_add_f64 v[134:135], v[134:135], -v[154:155]
	v_fmac_f64_e32 v[34:35], s[14:15], v[84:85]
	v_fmac_f64_e32 v[26:27], s[16:17], v[134:135]
	v_fmac_f64_e32 v[34:35], s[10:11], v[134:135]
	v_fmac_f64_e32 v[26:27], s[12:13], v[72:73]
	v_fmac_f64_e32 v[34:35], s[12:13], v[72:73]
	v_add_f64 v[72:73], v[156:157], -v[140:141]
	v_add_f64 v[136:137], v[164:165], -v[50:51]
	v_add_f64 v[144:145], v[72:73], v[136:137]
	v_add_f64 v[72:73], v[140:141], v[50:51]
	v_fma_f64 v[72:73], -0.5, v[72:73], v[20:21]
	v_add_f64 v[20:21], v[20:21], v[156:157]
	v_add_f64 v[20:21], v[140:141], v[20:21]
	v_add_f64 v[20:21], v[20:21], v[50:51]
	s_mov_b32 s0, 0x551c979b
	v_add_f64 v[140:141], v[20:21], v[164:165]
	v_mul_hi_u32 v20, v194, s0
	v_lshrrev_b32_e32 v20, 7, v20
	v_mul_u32_u24_e32 v20, 0x181, v20
	v_sub_u32_e32 v50, v194, v20
	v_lshl_add_u64 v[20:21], v[158:159], 4, s[6:7]
	v_lshl_add_u64 v[20:21], v[224:225], 4, v[20:21]
	v_lshlrev_b32_e32 v166, 4, v50
	v_fma_f64 v[136:137], s[14:15], v[134:135], v[72:73]
	v_fmac_f64_e32 v[72:73], s[4:5], v[134:135]
	v_lshl_add_u64 v[50:51], v[20:21], 0, v[166:167]
	v_fmac_f64_e32 v[136:137], s[16:17], v[84:85]
	v_fmac_f64_e32 v[72:73], s[10:11], v[84:85]
	v_add_co_u32_e32 v84, vcc, s2, v50
	v_fmac_f64_e32 v[72:73], s[12:13], v[144:145]
	s_nop 0
	v_addc_co_u32_e32 v85, vcc, 0, v51, vcc
	global_store_dwordx4 v[84:85], v[72:75], off offset:2064
	s_movk_i32 s1, 0x4000
	v_fmac_f64_e32 v[136:137], s[12:13], v[144:145]
	v_add_co_u32_e32 v72, vcc, s3, v50
	v_add_f64 v[22:23], v[22:23], v[174:175]
	s_nop 0
	v_addc_co_u32_e32 v73, vcc, 0, v51, vcc
	global_store_dwordx4 v[72:73], v[34:37], off offset:32
	global_store_dwordx4 v[50:51], v[140:143], off
	s_nop 0
	v_add_co_u32_e32 v34, vcc, s1, v50
	s_movk_i32 s1, 0x6000
	s_nop 0
	v_addc_co_u32_e32 v35, vcc, 0, v51, vcc
	global_store_dwordx4 v[34:35], v[26:29], off offset:2096
	s_nop 1
	v_add_co_u32_e32 v26, vcc, s1, v50
	s_movk_i32 s1, 0x785
	s_nop 0
	v_addc_co_u32_e32 v27, vcc, 0, v51, vcc
	global_store_dwordx4 v[26:27], v[136:139], off offset:64
	v_add_u32_e32 v26, 55, v194
	v_mul_hi_u32 v27, v26, s0
	v_lshrrev_b32_e32 v27, 7, v27
	v_mul_u32_u24_e32 v28, 0x181, v27
	v_sub_u32_e32 v26, v26, v28
	v_mad_u32_u24 v166, v27, s1, v26
	v_lshl_add_u64 v[26:27], v[166:167], 4, v[20:21]
	global_store_dwordx4 v[26:27], v[22:25], off
	s_nop 1
	v_add_u32_e32 v22, 0x181, v166
	v_mov_b32_e32 v23, v167
	v_lshl_add_u64 v[22:23], v[22:23], 4, v[20:21]
	global_store_dwordx4 v[22:23], v[148:151], off
	v_add_u32_e32 v22, 0x302, v166
	v_mov_b32_e32 v23, v167
	v_lshl_add_u64 v[22:23], v[22:23], 4, v[20:21]
	global_store_dwordx4 v[22:23], v[42:45], off
	v_add_u32_e32 v22, 0x483, v166
	v_mov_b32_e32 v23, v167
	v_lshl_add_u64 v[22:23], v[22:23], 4, v[20:21]
	v_add_u32_e32 v166, 0x604, v166
	global_store_dwordx4 v[22:23], v[30:33], off
	v_lshl_add_u64 v[22:23], v[166:167], 4, v[20:21]
	global_store_dwordx4 v[22:23], v[38:41], off
	v_add_u32_e32 v22, 0x6e, v194
	v_mul_hi_u32 v23, v22, s0
	v_lshrrev_b32_e32 v23, 7, v23
	v_mul_u32_u24_e32 v24, 0x181, v23
	v_sub_u32_e32 v22, v22, v24
	v_mad_u32_u24 v166, v23, s1, v22
	v_lshl_add_u64 v[22:23], v[166:167], 4, v[20:21]
	global_store_dwordx4 v[22:23], v[130:133], off
	v_add_u32_e32 v22, 0x181, v166
	v_mov_b32_e32 v23, v167
	v_lshl_add_u64 v[22:23], v[22:23], 4, v[20:21]
	global_store_dwordx4 v[22:23], v[126:129], off
	v_add_u32_e32 v22, 0x302, v166
	v_mov_b32_e32 v23, v167
	v_lshl_add_u64 v[22:23], v[22:23], 4, v[20:21]
	global_store_dwordx4 v[22:23], v[80:83], off
	v_add_u32_e32 v22, 0x483, v166
	v_mov_b32_e32 v23, v167
	v_lshl_add_u64 v[22:23], v[22:23], 4, v[20:21]
	v_add_u32_e32 v166, 0x604, v166
	global_store_dwordx4 v[22:23], v[46:49], off
	v_lshl_add_u64 v[22:23], v[166:167], 4, v[20:21]
	global_store_dwordx4 v[22:23], v[76:79], off
	v_add_u32_e32 v22, 0xa5, v194
	v_mul_hi_u32 v23, v22, s0
	v_lshrrev_b32_e32 v23, 7, v23
	v_mul_u32_u24_e32 v24, 0x181, v23
	v_sub_u32_e32 v22, v22, v24
	v_mad_u32_u24 v166, v23, s1, v22
	v_lshl_add_u64 v[22:23], v[166:167], 4, v[20:21]
	global_store_dwordx4 v[22:23], v[122:125], off
	;; [unrolled: 23-line block ×5, first 2 shown]
	s_nop 1
	v_add_u32_e32 v16, 0x181, v166
	v_mov_b32_e32 v17, v167
	v_lshl_add_u64 v[16:17], v[16:17], 4, v[20:21]
	global_store_dwordx4 v[16:17], v[12:15], off
	s_nop 1
	v_add_u32_e32 v12, 0x302, v166
	v_mov_b32_e32 v13, v167
	v_lshl_add_u64 v[12:13], v[12:13], 4, v[20:21]
	global_store_dwordx4 v[12:13], v[8:11], off
	s_nop 1
	v_add_u32_e32 v8, 0x483, v166
	v_mov_b32_e32 v9, v167
	v_lshl_add_u64 v[8:9], v[8:9], 4, v[20:21]
	v_add_u32_e32 v166, 0x604, v166
	global_store_dwordx4 v[8:9], v[4:7], off
	s_nop 1
	v_lshl_add_u64 v[4:5], v[166:167], 4, v[20:21]
	global_store_dwordx4 v[4:5], v[0:3], off
.LBB0_23:
	s_endpgm
	.section	.rodata,"a",@progbits
	.p2align	6, 0x0
	.amdhsa_kernel fft_rtc_fwd_len1925_factors_7_11_5_5_wgs_55_tpt_55_halfLds_dp_op_CI_CI_unitstride_sbrr_dirReg
		.amdhsa_group_segment_fixed_size 0
		.amdhsa_private_segment_fixed_size 0
		.amdhsa_kernarg_size 104
		.amdhsa_user_sgpr_count 2
		.amdhsa_user_sgpr_dispatch_ptr 0
		.amdhsa_user_sgpr_queue_ptr 0
		.amdhsa_user_sgpr_kernarg_segment_ptr 1
		.amdhsa_user_sgpr_dispatch_id 0
		.amdhsa_user_sgpr_kernarg_preload_length 0
		.amdhsa_user_sgpr_kernarg_preload_offset 0
		.amdhsa_user_sgpr_private_segment_size 0
		.amdhsa_uses_dynamic_stack 0
		.amdhsa_enable_private_segment 0
		.amdhsa_system_sgpr_workgroup_id_x 1
		.amdhsa_system_sgpr_workgroup_id_y 0
		.amdhsa_system_sgpr_workgroup_id_z 0
		.amdhsa_system_sgpr_workgroup_info 0
		.amdhsa_system_vgpr_workitem_id 0
		.amdhsa_next_free_vgpr 285
		.amdhsa_next_free_sgpr 40
		.amdhsa_accum_offset 256
		.amdhsa_reserve_vcc 1
		.amdhsa_float_round_mode_32 0
		.amdhsa_float_round_mode_16_64 0
		.amdhsa_float_denorm_mode_32 3
		.amdhsa_float_denorm_mode_16_64 3
		.amdhsa_dx10_clamp 1
		.amdhsa_ieee_mode 1
		.amdhsa_fp16_overflow 0
		.amdhsa_tg_split 0
		.amdhsa_exception_fp_ieee_invalid_op 0
		.amdhsa_exception_fp_denorm_src 0
		.amdhsa_exception_fp_ieee_div_zero 0
		.amdhsa_exception_fp_ieee_overflow 0
		.amdhsa_exception_fp_ieee_underflow 0
		.amdhsa_exception_fp_ieee_inexact 0
		.amdhsa_exception_int_div_zero 0
	.end_amdhsa_kernel
	.text
.Lfunc_end0:
	.size	fft_rtc_fwd_len1925_factors_7_11_5_5_wgs_55_tpt_55_halfLds_dp_op_CI_CI_unitstride_sbrr_dirReg, .Lfunc_end0-fft_rtc_fwd_len1925_factors_7_11_5_5_wgs_55_tpt_55_halfLds_dp_op_CI_CI_unitstride_sbrr_dirReg
                                        ; -- End function
	.section	.AMDGPU.csdata,"",@progbits
; Kernel info:
; codeLenInByte = 28844
; NumSgprs: 46
; NumVgprs: 256
; NumAgprs: 29
; TotalNumVgprs: 285
; ScratchSize: 0
; MemoryBound: 1
; FloatMode: 240
; IeeeMode: 1
; LDSByteSize: 0 bytes/workgroup (compile time only)
; SGPRBlocks: 5
; VGPRBlocks: 35
; NumSGPRsForWavesPerEU: 46
; NumVGPRsForWavesPerEU: 285
; AccumOffset: 256
; Occupancy: 1
; WaveLimiterHint : 1
; COMPUTE_PGM_RSRC2:SCRATCH_EN: 0
; COMPUTE_PGM_RSRC2:USER_SGPR: 2
; COMPUTE_PGM_RSRC2:TRAP_HANDLER: 0
; COMPUTE_PGM_RSRC2:TGID_X_EN: 1
; COMPUTE_PGM_RSRC2:TGID_Y_EN: 0
; COMPUTE_PGM_RSRC2:TGID_Z_EN: 0
; COMPUTE_PGM_RSRC2:TIDIG_COMP_CNT: 0
; COMPUTE_PGM_RSRC3_GFX90A:ACCUM_OFFSET: 63
; COMPUTE_PGM_RSRC3_GFX90A:TG_SPLIT: 0
	.text
	.p2alignl 6, 3212836864
	.fill 256, 4, 3212836864
	.type	__hip_cuid_ccfee1e16831bc1f,@object ; @__hip_cuid_ccfee1e16831bc1f
	.section	.bss,"aw",@nobits
	.globl	__hip_cuid_ccfee1e16831bc1f
__hip_cuid_ccfee1e16831bc1f:
	.byte	0                               ; 0x0
	.size	__hip_cuid_ccfee1e16831bc1f, 1

	.ident	"AMD clang version 19.0.0git (https://github.com/RadeonOpenCompute/llvm-project roc-6.4.0 25133 c7fe45cf4b819c5991fe208aaa96edf142730f1d)"
	.section	".note.GNU-stack","",@progbits
	.addrsig
	.addrsig_sym __hip_cuid_ccfee1e16831bc1f
	.amdgpu_metadata
---
amdhsa.kernels:
  - .agpr_count:     29
    .args:
      - .actual_access:  read_only
        .address_space:  global
        .offset:         0
        .size:           8
        .value_kind:     global_buffer
      - .offset:         8
        .size:           8
        .value_kind:     by_value
      - .actual_access:  read_only
        .address_space:  global
        .offset:         16
        .size:           8
        .value_kind:     global_buffer
      - .actual_access:  read_only
        .address_space:  global
        .offset:         24
        .size:           8
        .value_kind:     global_buffer
      - .actual_access:  read_only
        .address_space:  global
        .offset:         32
        .size:           8
        .value_kind:     global_buffer
      - .offset:         40
        .size:           8
        .value_kind:     by_value
      - .actual_access:  read_only
        .address_space:  global
        .offset:         48
        .size:           8
        .value_kind:     global_buffer
      - .actual_access:  read_only
        .address_space:  global
        .offset:         56
        .size:           8
        .value_kind:     global_buffer
      - .offset:         64
        .size:           4
        .value_kind:     by_value
      - .actual_access:  read_only
        .address_space:  global
        .offset:         72
        .size:           8
        .value_kind:     global_buffer
      - .actual_access:  read_only
        .address_space:  global
        .offset:         80
        .size:           8
        .value_kind:     global_buffer
      - .actual_access:  read_only
        .address_space:  global
        .offset:         88
        .size:           8
        .value_kind:     global_buffer
      - .actual_access:  write_only
        .address_space:  global
        .offset:         96
        .size:           8
        .value_kind:     global_buffer
    .group_segment_fixed_size: 0
    .kernarg_segment_align: 8
    .kernarg_segment_size: 104
    .language:       OpenCL C
    .language_version:
      - 2
      - 0
    .max_flat_workgroup_size: 55
    .name:           fft_rtc_fwd_len1925_factors_7_11_5_5_wgs_55_tpt_55_halfLds_dp_op_CI_CI_unitstride_sbrr_dirReg
    .private_segment_fixed_size: 0
    .sgpr_count:     46
    .sgpr_spill_count: 0
    .symbol:         fft_rtc_fwd_len1925_factors_7_11_5_5_wgs_55_tpt_55_halfLds_dp_op_CI_CI_unitstride_sbrr_dirReg.kd
    .uniform_work_group_size: 1
    .uses_dynamic_stack: false
    .vgpr_count:     285
    .vgpr_spill_count: 1
    .wavefront_size: 64
amdhsa.target:   amdgcn-amd-amdhsa--gfx950
amdhsa.version:
  - 1
  - 2
...

	.end_amdgpu_metadata
